;; amdgpu-corpus repo=ROCm/rocFFT kind=compiled arch=gfx1201 opt=O3
	.text
	.amdgcn_target "amdgcn-amd-amdhsa--gfx1201"
	.amdhsa_code_object_version 6
	.protected	bluestein_single_back_len1575_dim1_half_op_CI_CI ; -- Begin function bluestein_single_back_len1575_dim1_half_op_CI_CI
	.globl	bluestein_single_back_len1575_dim1_half_op_CI_CI
	.p2align	8
	.type	bluestein_single_back_len1575_dim1_half_op_CI_CI,@function
bluestein_single_back_len1575_dim1_half_op_CI_CI: ; @bluestein_single_back_len1575_dim1_half_op_CI_CI
; %bb.0:
	s_load_b128 s[12:15], s[0:1], 0x28
	v_mul_u32_u24_e32 v1, 0x411, v0
	s_mov_b32 s2, exec_lo
	v_mov_b32_e32 v59, 0
	s_delay_alu instid0(VALU_DEP_2) | instskip(NEXT) | instid1(VALU_DEP_1)
	v_lshrrev_b32_e32 v1, 16, v1
	v_add_nc_u32_e32 v58, ttmp9, v1
	s_wait_kmcnt 0x0
	s_delay_alu instid0(VALU_DEP_1)
	v_cmpx_gt_u64_e64 s[12:13], v[58:59]
	s_cbranch_execz .LBB0_31
; %bb.1:
	s_clause 0x1
	s_load_b128 s[4:7], s[0:1], 0x18
	s_load_b64 s[12:13], s[0:1], 0x0
	v_mul_lo_u16 v1, v1, 63
	s_movk_i32 s2, 0xfc25
	s_mov_b32 s3, -1
	s_delay_alu instid0(VALU_DEP_1)
	v_sub_nc_u16 v2, v0, v1
	s_wait_kmcnt 0x0
	s_load_b128 s[8:11], s[4:5], 0x0
	s_wait_kmcnt 0x0
	v_mad_co_u64_u32 v[0:1], null, s10, v58, 0
	s_mul_u64 s[4:5], s[8:9], 0x20d
	s_mul_u64 s[2:3], s[8:9], s[2:3]
	s_delay_alu instid0(SALU_CYCLE_1) | instskip(NEXT) | instid1(VALU_DEP_1)
	s_lshl_b64 s[2:3], s[2:3], 2
	v_mad_co_u64_u32 v[5:6], null, s11, v58, v[1:2]
	v_and_b32_e32 v150, 0xffff, v2
	s_lshl_b64 s[10:11], s[4:5], 2
	s_delay_alu instid0(VALU_DEP_2) | instskip(NEXT) | instid1(VALU_DEP_2)
	v_mov_b32_e32 v1, v5
	v_mad_co_u64_u32 v[3:4], null, s8, v150, 0
	s_delay_alu instid0(VALU_DEP_2) | instskip(NEXT) | instid1(VALU_DEP_2)
	v_lshlrev_b64_e32 v[0:1], 2, v[0:1]
	v_mad_co_u64_u32 v[6:7], null, s9, v150, v[4:5]
	v_lshlrev_b32_e32 v109, 2, v150
	s_delay_alu instid0(VALU_DEP_3) | instskip(NEXT) | instid1(VALU_DEP_4)
	v_add_co_u32 v0, vcc_lo, s14, v0
	v_add_co_ci_u32_e32 v1, vcc_lo, s15, v1, vcc_lo
	s_delay_alu instid0(VALU_DEP_4)
	v_mov_b32_e32 v4, v6
	s_clause 0x17
	global_load_b32 v151, v109, s[12:13] offset:4200
	global_load_b32 v144, v109, s[12:13] offset:4452
	global_load_b32 v154, v109, s[12:13]
	global_load_b32 v147, v109, s[12:13] offset:252
	global_load_b32 v141, v109, s[12:13] offset:504
	;; [unrolled: 1-line block ×21, first 2 shown]
	v_lshlrev_b64_e32 v[3:4], 2, v[3:4]
	v_add_nc_u32_e32 v31, 0xa00, v109
	v_add_nc_u32_e32 v32, 0x1200, v109
	v_add_co_u32 v56, s14, s12, v109
	s_wait_alu 0xf1ff
	v_add_co_ci_u32_e64 v57, null, s13, 0, s14
	v_add_co_u32 v0, vcc_lo, v0, v3
	s_wait_alu 0xfffd
	v_add_co_ci_u32_e32 v1, vcc_lo, v1, v4, vcc_lo
	global_load_b32 v7, v[0:1], off
	s_wait_alu 0xfffe
	v_add_co_u32 v0, vcc_lo, v0, s10
	s_wait_alu 0xfffd
	v_add_co_ci_u32_e32 v1, vcc_lo, s11, v1, vcc_lo
	s_delay_alu instid0(VALU_DEP_2) | instskip(SKIP_1) | instid1(VALU_DEP_2)
	v_add_co_u32 v3, vcc_lo, v0, s10
	s_wait_alu 0xfffd
	v_add_co_ci_u32_e32 v4, vcc_lo, s11, v1, vcc_lo
	s_clause 0x1
	global_load_b32 v8, v[0:1], off
	global_load_b32 v9, v[3:4], off
	v_add_co_u32 v0, vcc_lo, v3, s2
	s_wait_alu 0xfffd
	v_add_co_ci_u32_e32 v1, vcc_lo, s3, v4, vcc_lo
	s_delay_alu instid0(VALU_DEP_2) | instskip(SKIP_1) | instid1(VALU_DEP_2)
	v_add_co_u32 v3, vcc_lo, v0, s10
	s_wait_alu 0xfffd
	v_add_co_ci_u32_e32 v4, vcc_lo, s11, v1, vcc_lo
	s_clause 0x1
	global_load_b32 v10, v[0:1], off
	global_load_b32 v11, v[3:4], off
	v_add_co_u32 v0, vcc_lo, v3, s10
	s_wait_alu 0xfffd
	v_add_co_ci_u32_e32 v1, vcc_lo, s11, v4, vcc_lo
	global_load_b32 v12, v[0:1], off
	v_add_co_u32 v0, vcc_lo, v0, s2
	s_wait_alu 0xfffd
	v_add_co_ci_u32_e32 v1, vcc_lo, s3, v1, vcc_lo
	s_delay_alu instid0(VALU_DEP_2) | instskip(SKIP_1) | instid1(VALU_DEP_2)
	v_add_co_u32 v3, vcc_lo, v0, s10
	s_wait_alu 0xfffd
	v_add_co_ci_u32_e32 v4, vcc_lo, s11, v1, vcc_lo
	global_load_b32 v13, v[0:1], off
	v_add_co_u32 v0, vcc_lo, v3, s10
	s_wait_alu 0xfffd
	v_add_co_ci_u32_e32 v1, vcc_lo, s11, v4, vcc_lo
	global_load_b32 v14, v[3:4], off
	v_add_co_u32 v3, vcc_lo, v0, s2
	s_wait_alu 0xfffd
	v_add_co_ci_u32_e32 v4, vcc_lo, s3, v1, vcc_lo
	global_load_b32 v15, v[0:1], off
	global_load_b32 v16, v[3:4], off
	v_add_co_u32 v0, vcc_lo, v3, s10
	s_wait_alu 0xfffd
	v_add_co_ci_u32_e32 v1, vcc_lo, s11, v4, vcc_lo
	s_delay_alu instid0(VALU_DEP_2) | instskip(SKIP_1) | instid1(VALU_DEP_2)
	v_add_co_u32 v3, vcc_lo, v0, s10
	s_wait_alu 0xfffd
	v_add_co_ci_u32_e32 v4, vcc_lo, s11, v1, vcc_lo
	global_load_b32 v17, v[0:1], off
	global_load_b32 v18, v[3:4], off
	v_add_co_u32 v0, vcc_lo, v3, s2
	s_wait_alu 0xfffd
	v_add_co_ci_u32_e32 v1, vcc_lo, s3, v4, vcc_lo
	s_delay_alu instid0(VALU_DEP_2) | instskip(SKIP_1) | instid1(VALU_DEP_2)
	v_add_co_u32 v3, vcc_lo, v0, s10
	s_wait_alu 0xfffd
	v_add_co_ci_u32_e32 v4, vcc_lo, s11, v1, vcc_lo
	global_load_b32 v19, v[0:1], off
	v_add_co_u32 v0, vcc_lo, v3, s10
	s_wait_alu 0xfffd
	v_add_co_ci_u32_e32 v1, vcc_lo, s11, v4, vcc_lo
	global_load_b32 v20, v[3:4], off
	global_load_b32 v21, v[0:1], off
	v_add_co_u32 v0, vcc_lo, v0, s2
	s_wait_alu 0xfffd
	v_add_co_ci_u32_e32 v1, vcc_lo, s3, v1, vcc_lo
	s_delay_alu instid0(VALU_DEP_2) | instskip(SKIP_1) | instid1(VALU_DEP_2)
	v_add_co_u32 v3, vcc_lo, v0, s10
	s_wait_alu 0xfffd
	v_add_co_ci_u32_e32 v4, vcc_lo, s11, v1, vcc_lo
	global_load_b32 v22, v[0:1], off
	global_load_b32 v23, v[3:4], off
	v_add_co_u32 v0, vcc_lo, v3, s10
	s_wait_alu 0xfffd
	v_add_co_ci_u32_e32 v1, vcc_lo, s11, v4, vcc_lo
	s_delay_alu instid0(VALU_DEP_2) | instskip(SKIP_1) | instid1(VALU_DEP_2)
	v_add_co_u32 v3, vcc_lo, v0, s2
	s_wait_alu 0xfffd
	v_add_co_ci_u32_e32 v4, vcc_lo, s3, v1, vcc_lo
	global_load_b32 v24, v[0:1], off
	v_add_co_u32 v0, vcc_lo, v3, s10
	s_wait_alu 0xfffd
	v_add_co_ci_u32_e32 v1, vcc_lo, s11, v4, vcc_lo
	global_load_b32 v25, v[3:4], off
	global_load_b32 v26, v[0:1], off
	v_add_co_u32 v0, vcc_lo, v0, s10
	s_wait_alu 0xfffd
	v_add_co_ci_u32_e32 v1, vcc_lo, s11, v1, vcc_lo
	s_delay_alu instid0(VALU_DEP_2) | instskip(SKIP_1) | instid1(VALU_DEP_2)
	v_add_co_u32 v3, vcc_lo, v0, s2
	s_wait_alu 0xfffd
	v_add_co_ci_u32_e32 v4, vcc_lo, s3, v1, vcc_lo
	global_load_b32 v27, v[0:1], off
	v_add_co_u32 v5, vcc_lo, v3, s10
	s_wait_alu 0xfffd
	v_add_co_ci_u32_e32 v6, vcc_lo, s11, v4, vcc_lo
	global_load_b32 v28, v[3:4], off
	;; [unrolled: 4-line block ×3, first 2 shown]
	global_load_b32 v30, v[0:1], off
	s_load_b64 s[8:9], s[0:1], 0x38
	s_load_b128 s[4:7], s[6:7], 0x0
	v_add_nc_u32_e32 v3, 0x800, v109
	v_add_nc_u32_e32 v5, 0x1000, v109
	;; [unrolled: 1-line block ×4, first 2 shown]
	v_cmp_gt_u16_e32 vcc_lo, 21, v2
	s_wait_loadcnt 0x2d
	v_lshrrev_b32_e32 v35, 16, v154
	s_wait_loadcnt 0x25
	v_lshrrev_b32_e32 v63, 16, v156
	v_lshrrev_b32_e32 v38, 16, v147
	s_wait_loadcnt 0x24
	v_lshrrev_b32_e32 v61, 16, v149
	v_lshrrev_b32_e32 v59, 16, v141
	;; [unrolled: 1-line block ×4, first 2 shown]
	s_wait_loadcnt 0x23
	v_lshrrev_b32_e32 v55, 16, v143
	s_wait_loadcnt 0x1d
	v_lshrrev_b32_e32 v54, 16, v140
	v_lshrrev_b32_e32 v53, 16, v136
	v_lshrrev_b32_e32 v52, 16, v137
	s_wait_loadcnt 0x1c
	v_lshrrev_b32_e32 v51, 16, v134
	v_lshrrev_b32_e32 v50, 16, v131
	;; [unrolled: 4-line block ×5, first 2 shown]
	v_lshrrev_b32_e32 v40, 16, v111
	s_wait_loadcnt 0x18
	v_lshrrev_b32_e32 v39, 16, v110
	s_wait_loadcnt 0x17
	v_lshrrev_b32_e32 v33, 16, v7
	v_mul_f16_e32 v34, v35, v7
	s_delay_alu instid0(VALU_DEP_2) | instskip(NEXT) | instid1(VALU_DEP_2)
	v_mul_f16_e32 v35, v35, v33
	v_fma_f16 v33, v154, v33, -v34
	s_wait_loadcnt 0x16
	v_lshrrev_b32_e32 v36, 16, v8
	v_mul_f16_e32 v37, v63, v8
	v_fmac_f16_e64 v35, v154, v7
	s_wait_loadcnt 0x15
	v_lshrrev_b32_e32 v34, 16, v9
	v_mul_f16_e32 v7, v63, v36
	v_fma_f16 v36, v156, v36, -v37
	v_mul_f16_e32 v37, v62, v9
	v_pack_b32_f16 v33, v35, v33
	s_delay_alu instid0(VALU_DEP_4) | instskip(SKIP_1) | instid1(VALU_DEP_4)
	v_fmac_f16_e64 v7, v156, v8
	v_mul_f16_e32 v8, v62, v34
	v_fma_f16 v34, v151, v34, -v37
	s_wait_loadcnt 0x14
	v_lshrrev_b32_e32 v35, 16, v10
	v_mul_f16_e32 v37, v38, v10
	v_pack_b32_f16 v7, v7, v36
	v_fmac_f16_e64 v8, v151, v9
	s_wait_loadcnt 0x13
	v_lshrrev_b32_e32 v36, 16, v11
	v_mul_f16_e32 v9, v38, v35
	v_mul_f16_e32 v38, v61, v11
	v_fma_f16 v35, v147, v35, -v37
	v_pack_b32_f16 v8, v8, v34
	s_wait_loadcnt 0x12
	v_mul_f16_e32 v37, v60, v12
	v_fmac_f16_e64 v9, v147, v10
	v_mul_f16_e32 v10, v61, v36
	v_fma_f16 v34, v149, v36, -v38
	v_lshrrev_b32_e32 v36, 16, v12
	ds_store_b32 v109, v7 offset:2100
	ds_store_b32 v109, v8 offset:4200
	v_pack_b32_f16 v7, v9, v35
	v_fmac_f16_e64 v10, v149, v11
	v_mul_f16_e32 v8, v60, v36
	s_wait_loadcnt 0x11
	v_lshrrev_b32_e32 v11, 16, v13
	v_fma_f16 v9, v144, v36, -v37
	v_mul_f16_e32 v35, v59, v13
	ds_store_2addr_b32 v109, v33, v7 offset1:63
	v_pack_b32_f16 v7, v10, v34
	v_fmac_f16_e64 v8, v144, v12
	v_mul_f16_e32 v10, v59, v11
	s_wait_loadcnt 0x10
	v_lshrrev_b32_e32 v12, 16, v14
	v_fma_f16 v11, v141, v11, -v35
	v_mul_f16_e32 v33, v55, v14
	v_pack_b32_f16 v8, v8, v9
	v_fmac_f16_e64 v10, v141, v13
	v_mul_f16_e32 v9, v55, v12
	s_wait_loadcnt 0xf
	v_lshrrev_b32_e32 v13, 16, v15
	v_fma_f16 v12, v143, v12, -v33
	v_mul_f16_e32 v33, v54, v15
	v_pack_b32_f16 v10, v10, v11
	v_fmac_f16_e64 v9, v143, v14
	v_mul_f16_e32 v11, v54, v13
	s_wait_loadcnt 0xe
	v_lshrrev_b32_e32 v14, 16, v16
	v_mul_f16_e32 v34, v53, v16
	v_fma_f16 v13, v140, v13, -v33
	v_pack_b32_f16 v9, v9, v12
	v_fmac_f16_e64 v11, v140, v15
	v_mul_f16_e32 v12, v53, v14
	s_wait_loadcnt 0xd
	v_lshrrev_b32_e32 v15, 16, v17
	v_mul_f16_e32 v33, v52, v17
	v_fma_f16 v14, v136, v14, -v34
	ds_store_2addr_b32 v3, v7, v9 offset0:76 offset1:139
	v_pack_b32_f16 v7, v11, v13
	v_fmac_f16_e64 v12, v136, v16
	v_mul_f16_e32 v9, v52, v15
	v_fma_f16 v11, v137, v15, -v33
	s_wait_loadcnt 0xc
	v_lshrrev_b32_e32 v13, 16, v18
	v_mul_f16_e32 v15, v51, v18
	ds_store_2addr_b32 v5, v8, v7 offset0:89 offset1:152
	v_pack_b32_f16 v7, v12, v14
	v_fmac_f16_e64 v9, v137, v17
	v_mul_f16_e32 v8, v51, v13
	v_fma_f16 v12, v134, v13, -v15
	s_wait_loadcnt 0xb
	v_lshrrev_b32_e32 v13, 16, v19
	v_mul_f16_e32 v14, v50, v19
	ds_store_2addr_b32 v109, v10, v7 offset0:126 offset1:189
	v_pack_b32_f16 v7, v9, v11
	v_fmac_f16_e64 v8, v134, v18
	v_mul_f16_e32 v9, v50, v13
	s_wait_loadcnt 0xa
	v_lshrrev_b32_e32 v10, 16, v20
	v_fma_f16 v11, v131, v13, -v14
	v_mul_f16_e32 v13, v49, v20
	v_pack_b32_f16 v8, v8, v12
	v_fmac_f16_e64 v9, v131, v19
	v_mul_f16_e32 v12, v49, v10
	s_wait_loadcnt 0x9
	v_lshrrev_b32_e32 v14, 16, v21
	v_fma_f16 v10, v130, v10, -v13
	v_mul_f16_e32 v13, v48, v21
	v_pack_b32_f16 v9, v9, v11
	v_fmac_f16_e64 v12, v130, v20
	v_mul_f16_e32 v11, v48, v14
	s_wait_loadcnt 0x8
	v_lshrrev_b32_e32 v15, 16, v22
	v_mul_f16_e32 v16, v47, v22
	v_fma_f16 v13, v128, v14, -v13
	v_pack_b32_f16 v10, v12, v10
	v_fmac_f16_e64 v11, v128, v21
	v_mul_f16_e32 v12, v47, v15
	v_fma_f16 v14, v125, v15, -v16
	s_wait_loadcnt 0x7
	v_lshrrev_b32_e32 v15, 16, v23
	v_mul_f16_e32 v16, v46, v23
	ds_store_2addr_b32 v31, v7, v10 offset0:74 offset1:137
	v_pack_b32_f16 v7, v11, v13
	v_fmac_f16_e32 v12, v125, v22
	v_mul_f16_e32 v10, v46, v15
	s_wait_loadcnt 0x6
	v_lshrrev_b32_e32 v13, 16, v24
	v_fma_f16 v11, v124, v15, -v16
	v_mul_f16_e32 v15, v45, v24
	ds_store_2addr_b32 v32, v8, v7 offset0:87 offset1:150
	v_pack_b32_f16 v7, v12, v14
	v_fmac_f16_e32 v10, v124, v23
	v_mul_f16_e32 v8, v45, v13
	v_fma_f16 v12, v122, v13, -v15
	s_wait_loadcnt 0x5
	v_lshrrev_b32_e32 v13, 16, v25
	v_mul_f16_e32 v14, v44, v25
	ds_store_2addr_b32 v6, v9, v7 offset0:124 offset1:187
	v_pack_b32_f16 v7, v10, v11
	v_fmac_f16_e32 v8, v122, v24
	s_wait_loadcnt 0x4
	v_lshrrev_b32_e32 v10, 16, v26
	v_mul_f16_e32 v9, v44, v13
	v_fma_f16 v11, v119, v13, -v14
	v_mul_f16_e32 v13, v43, v26
	v_pack_b32_f16 v8, v8, v12
	v_mul_f16_e32 v12, v43, v10
	v_fmac_f16_e32 v9, v119, v25
	s_wait_loadcnt 0x3
	v_lshrrev_b32_e32 v14, 16, v27
	v_fma_f16 v10, v118, v10, -v13
	v_mul_f16_e32 v13, v42, v27
	v_fmac_f16_e32 v12, v118, v26
	s_wait_loadcnt 0x2
	v_lshrrev_b32_e32 v15, 16, v28
	v_mul_f16_e32 v16, v41, v28
	v_pack_b32_f16 v9, v9, v11
	v_mul_f16_e32 v11, v42, v14
	v_fma_f16 v13, v116, v14, -v13
	v_pack_b32_f16 v10, v12, v10
	v_mul_f16_e32 v12, v41, v15
	v_fma_f16 v14, v113, v15, -v16
	s_wait_loadcnt 0x1
	v_lshrrev_b32_e32 v15, 16, v29
	v_fmac_f16_e32 v11, v116, v27
	s_wait_loadcnt 0x0
	v_lshrrev_b32_e32 v16, 16, v30
	v_mul_f16_e32 v17, v40, v29
	ds_store_2addr_b32 v4, v7, v10 offset0:72 offset1:135
	v_mul_f16_e32 v10, v40, v15
	v_pack_b32_f16 v7, v11, v13
	v_mul_f16_e32 v11, v39, v16
	v_mul_f16_e32 v13, v39, v30
	v_fmac_f16_e32 v12, v113, v28
	v_fma_f16 v15, v111, v15, -v17
	v_fmac_f16_e32 v10, v111, v29
	v_fmac_f16_e32 v11, v110, v30
	v_fma_f16 v13, v110, v16, -v13
	v_add_nc_u32_e32 v24, 0x1400, v109
	v_add_nc_u32_e32 v25, 0x400, v109
	v_pack_b32_f16 v12, v12, v14
	v_pack_b32_f16 v10, v10, v15
	;; [unrolled: 1-line block ×3, first 2 shown]
	ds_store_2addr_b32 v24, v8, v7 offset0:85 offset1:148
	ds_store_2addr_b32 v25, v9, v12 offset0:122 offset1:185
	ds_store_b32 v109, v10 offset:3864
	ds_store_b32 v109, v11 offset:5964
	s_and_saveexec_b32 s14, vcc_lo
	s_cbranch_execz .LBB0_3
; %bb.2:
	v_add_co_u32 v0, s2, v0, s2
	s_wait_alu 0xf1ff
	v_add_co_ci_u32_e64 v1, s2, s3, v1, s2
	global_load_b32 v2, v[56:57], off offset:2016
	v_add_co_u32 v7, s2, v0, s10
	s_wait_alu 0xf1ff
	v_add_co_ci_u32_e64 v8, s2, s11, v1, s2
	s_delay_alu instid0(VALU_DEP_2) | instskip(SKIP_1) | instid1(VALU_DEP_2)
	v_add_co_u32 v9, s2, v7, s10
	s_wait_alu 0xf1ff
	v_add_co_ci_u32_e64 v10, s2, s11, v8, s2
	global_load_b32 v11, v[56:57], off offset:4116
	global_load_b32 v0, v[0:1], off
	global_load_b32 v1, v[56:57], off offset:6216
	global_load_b32 v7, v[7:8], off
	global_load_b32 v8, v[9:10], off
	s_wait_loadcnt 0x5
	v_lshrrev_b32_e32 v9, 16, v2
	s_wait_loadcnt 0x4
	v_lshrrev_b32_e32 v10, 16, v11
	;; [unrolled: 2-line block ×3, first 2 shown]
	v_mul_f16_e32 v13, v9, v0
	s_wait_loadcnt 0x1
	v_lshrrev_b32_e32 v15, 16, v7
	v_lshrrev_b32_e32 v14, 16, v1
	s_wait_loadcnt 0x0
	v_lshrrev_b32_e32 v16, 16, v8
	v_mul_f16_e32 v9, v9, v12
	v_fma_f16 v12, v2, v12, -v13
	v_mul_f16_e32 v13, v10, v7
	v_mul_f16_e32 v10, v10, v15
	;; [unrolled: 1-line block ×4, first 2 shown]
	v_fmac_f16_e32 v9, v2, v0
	v_fma_f16 v0, v11, v15, -v13
	v_fmac_f16_e32 v10, v11, v7
	v_fmac_f16_e32 v17, v1, v8
	v_fma_f16 v1, v1, v16, -v14
	v_pack_b32_f16 v2, v9, v12
	s_delay_alu instid0(VALU_DEP_4) | instskip(NEXT) | instid1(VALU_DEP_3)
	v_pack_b32_f16 v0, v10, v0
	v_pack_b32_f16 v1, v17, v1
	ds_store_b32 v109, v2 offset:2016
	ds_store_b32 v109, v0 offset:4116
	;; [unrolled: 1-line block ×3, first 2 shown]
.LBB0_3:
	s_wait_alu 0xfffe
	s_or_b32 exec_lo, exec_lo, s14
	global_wb scope:SCOPE_SE
	s_wait_dscnt 0x0
	s_wait_kmcnt 0x0
	s_barrier_signal -1
	s_barrier_wait -1
	global_inv scope:SCOPE_SE
	ds_load_2addr_b32 v[20:21], v109 offset1:63
	ds_load_2addr_b32 v[22:23], v3 offset0:13 offset1:76
	ds_load_2addr_b32 v[18:19], v5 offset0:26 offset1:89
	;; [unrolled: 1-line block ×11, first 2 shown]
                                        ; implicit-def: $vgpr24
                                        ; implicit-def: $vgpr25
                                        ; implicit-def: $vgpr26
	s_and_saveexec_b32 s2, vcc_lo
	s_cbranch_execz .LBB0_5
; %bb.4:
	ds_load_b32 v25, v109 offset:2016
	ds_load_b32 v26, v109 offset:4116
	;; [unrolled: 1-line block ×3, first 2 shown]
.LBB0_5:
	s_wait_alu 0xfffe
	s_or_b32 exec_lo, exec_lo, s2
	s_load_b64 s[2:3], s[0:1], 0x8
	v_add_co_u32 v93, s0, v150, 63
	s_wait_alu 0xf1ff
	v_add_co_ci_u32_e64 v27, null, 0, 0, s0
	v_add_co_u32 v92, s0, 0x7e, v150
	s_wait_dscnt 0x0
	v_pk_add_f16 v32, v24, v26
	v_pk_add_f16 v33, v26, v24 neg_lo:[0,1] neg_hi:[0,1]
	s_wait_alu 0xf1ff
	v_add_co_ci_u32_e64 v27, null, 0, 0, s0
	v_add_co_u32 v90, s0, 0xfc, v150
	s_wait_alu 0xf1ff
	v_add_co_ci_u32_e64 v27, null, 0, 0, s0
	v_add_co_u32 v30, s0, 0x13b, v150
	;; [unrolled: 3-line block ×3, first 2 shown]
	v_pk_add_f16 v26, v25, v26
	v_pk_fma_f16 v25, v32, 0.5, v25 op_sel_hi:[1,0,1] neg_lo:[1,0,0] neg_hi:[1,0,0]
	v_pk_mul_f16 v32, 0x3aee, v33 op_sel_hi:[0,1]
	s_wait_alu 0xf1ff
	v_add_co_ci_u32_e64 v27, null, 0, 0, s0
	v_add_co_u32 v35, s0, 0x1b9, v150
	s_wait_alu 0xf1ff
	v_add_co_ci_u32_e64 v27, null, 0, 0, s0
	v_pk_add_f16 v27, v20, v22
	v_pk_add_f16 v26, v24, v26
	v_pk_add_f16 v24, v25, v32 op_sel:[0,1] op_sel_hi:[1,0] neg_lo:[0,1] neg_hi:[0,1]
	v_pk_add_f16 v25, v32, v25 op_sel:[1,0] op_sel_hi:[0,1]
	v_mul_lo_u16 v32, v150, 3
	v_pk_add_f16 v40, v22, v18
	v_pk_add_f16 v22, v22, v18 neg_lo:[0,1] neg_hi:[0,1]
	v_pk_add_f16 v28, v21, v23
	v_pk_add_f16 v29, v14, v16
	v_and_b32_e32 v32, 0xffff, v32
	v_pk_fma_f16 v20, v40, 0.5, v20 op_sel_hi:[1,0,1] neg_lo:[1,0,0] neg_hi:[1,0,0]
	v_pk_mul_f16 v22, 0x3aee, v22 op_sel_hi:[0,1]
	v_pk_add_f16 v40, v23, v19
	v_pk_add_f16 v23, v23, v19 neg_lo:[0,1] neg_hi:[0,1]
	v_lshlrev_b32_e32 v41, 2, v32
	v_pk_add_f16 v18, v27, v18
	v_pk_add_f16 v32, v20, v22 op_sel:[0,1] op_sel_hi:[1,0]
	v_pk_add_f16 v20, v20, v22 op_sel:[0,1] op_sel_hi:[1,0] neg_lo:[0,1] neg_hi:[0,1]
	v_pk_fma_f16 v21, v40, 0.5, v21 op_sel_hi:[1,0,1] neg_lo:[1,0,0] neg_hi:[1,0,0]
	v_pk_mul_f16 v22, 0x3aee, v23 op_sel_hi:[0,1]
	v_mul_u32_u24_e32 v23, 3, v93
	v_pk_add_f16 v19, v28, v19
	v_bfi_b32 v27, 0xffff, v32, v20
	v_bfi_b32 v20, 0xffff, v20, v32
	v_pk_add_f16 v32, v21, v22 op_sel:[0,1] op_sel_hi:[1,0]
	v_pk_add_f16 v21, v21, v22 op_sel:[0,1] op_sel_hi:[1,0] neg_lo:[0,1] neg_hi:[0,1]
	v_pk_add_f16 v22, v16, v12
	v_pk_add_f16 v16, v16, v12 neg_lo:[0,1] neg_hi:[0,1]
	v_lshlrev_b32_e32 v40, 2, v23
	global_wb scope:SCOPE_SE
	v_bfi_b32 v23, 0xffff, v32, v21
	v_pk_fma_f16 v14, v22, 0.5, v14 op_sel_hi:[1,0,1] neg_lo:[1,0,0] neg_hi:[1,0,0]
	v_pk_mul_f16 v16, 0x3aee, v16 op_sel_hi:[0,1]
	s_wait_kmcnt 0x0
	s_barrier_signal -1
	s_barrier_wait -1
	global_inv scope:SCOPE_SE
	v_bfi_b32 v21, 0xffff, v21, v32
	ds_store_2addr_b32 v41, v18, v27 offset1:1
	ds_store_b32 v41, v20 offset:8
	v_mul_u32_u24_e32 v18, 3, v92
	ds_store_2addr_b32 v40, v19, v23 offset1:1
	ds_store_b32 v40, v21 offset:8
	v_pk_add_f16 v19, v14, v16 op_sel:[0,1] op_sel_hi:[1,0]
	v_pk_add_f16 v14, v14, v16 op_sel:[0,1] op_sel_hi:[1,0] neg_lo:[0,1] neg_hi:[0,1]
	v_pk_add_f16 v34, v15, v17
	v_lshlrev_b32_e32 v20, 2, v18
	v_pk_add_f16 v12, v29, v12
	v_pk_add_f16 v16, v17, v13
	v_pk_add_f16 v17, v17, v13 neg_lo:[0,1] neg_hi:[0,1]
	v_bfi_b32 v18, 0xffff, v19, v14
	v_pk_add_f16 v37, v8, v10
	v_bfi_b32 v14, 0xffff, v14, v19
	v_pk_fma_f16 v15, v16, 0.5, v15 op_sel_hi:[1,0,1] neg_lo:[1,0,0] neg_hi:[1,0,0]
	v_pk_mul_f16 v16, 0x3aee, v17 op_sel_hi:[0,1]
	ds_store_2addr_b32 v20, v12, v18 offset1:1
	v_pk_add_f16 v12, v10, v6
	ds_store_b32 v20, v14 offset:8
	v_pk_add_f16 v10, v10, v6 neg_lo:[0,1] neg_hi:[0,1]
	v_add_co_u32 v91, null, 0xbd, v150
	v_pk_add_f16 v14, v15, v16 op_sel:[0,1] op_sel_hi:[1,0]
	v_pk_add_f16 v15, v15, v16 op_sel:[0,1] op_sel_hi:[1,0] neg_lo:[0,1] neg_hi:[0,1]
	v_pk_fma_f16 v8, v12, 0.5, v8 op_sel_hi:[1,0,1] neg_lo:[1,0,0] neg_hi:[1,0,0]
	v_pk_mul_f16 v10, 0x3aee, v10 op_sel_hi:[0,1]
	v_pk_add_f16 v33, v9, v11
	v_mul_u32_u24_e32 v19, 3, v91
	v_pk_add_f16 v12, v34, v13
	v_mul_u32_u24_e32 v13, 3, v90
	v_bfi_b32 v16, 0xffff, v14, v15
	v_bfi_b32 v14, 0xffff, v15, v14
	v_pk_add_f16 v15, v8, v10 op_sel:[0,1] op_sel_hi:[1,0]
	v_pk_add_f16 v8, v8, v10 op_sel:[0,1] op_sel_hi:[1,0] neg_lo:[0,1] neg_hi:[0,1]
	v_pk_add_f16 v10, v11, v7
	v_pk_add_f16 v11, v11, v7 neg_lo:[0,1] neg_hi:[0,1]
	v_lshlrev_b32_e32 v17, 2, v19
	v_lshlrev_b32_e32 v18, 2, v13
	v_pk_add_f16 v6, v37, v6
	v_bfi_b32 v13, 0xffff, v15, v8
	v_bfi_b32 v8, 0xffff, v8, v15
	v_pk_fma_f16 v9, v10, 0.5, v9 op_sel_hi:[1,0,1] neg_lo:[1,0,0] neg_hi:[1,0,0]
	v_pk_mul_f16 v10, 0x3aee, v11 op_sel_hi:[0,1]
	ds_store_2addr_b32 v17, v12, v16 offset1:1
	ds_store_b32 v17, v14 offset:8
	ds_store_2addr_b32 v18, v6, v13 offset1:1
	ds_store_b32 v18, v8 offset:8
	v_pk_add_f16 v6, v9, v10 op_sel:[0,1] op_sel_hi:[1,0]
	v_pk_add_f16 v8, v9, v10 op_sel:[0,1] op_sel_hi:[1,0] neg_lo:[0,1] neg_hi:[0,1]
	v_pk_add_f16 v9, v4, v0
	v_pk_add_f16 v38, v2, v4
	;; [unrolled: 1-line block ×3, first 2 shown]
	v_mul_u32_u24_e32 v11, 3, v30
	v_pk_add_f16 v4, v4, v0 neg_lo:[0,1] neg_hi:[0,1]
	v_pk_fma_f16 v2, v9, 0.5, v2 op_sel_hi:[1,0,1] neg_lo:[1,0,0] neg_hi:[1,0,0]
	v_pk_add_f16 v9, v5, v1
	v_pk_add_f16 v5, v5, v1 neg_lo:[0,1] neg_hi:[0,1]
	v_lshlrev_b32_e32 v11, 2, v11
	v_pk_add_f16 v7, v33, v7
	v_bfi_b32 v10, 0xffff, v6, v8
	v_bfi_b32 v6, 0xffff, v8, v6
	v_pk_mul_f16 v4, 0x3aee, v4 op_sel_hi:[0,1]
	v_pk_fma_f16 v3, v9, 0.5, v3 op_sel_hi:[1,0,1] neg_lo:[1,0,0] neg_hi:[1,0,0]
	v_pk_mul_f16 v5, 0x3aee, v5 op_sel_hi:[0,1]
	v_add_co_u32 v36, null, 0x1f8, v150
	v_mul_u32_u24_e32 v8, 3, v31
	ds_store_2addr_b32 v11, v7, v10 offset1:1
	ds_store_b32 v11, v6 offset:8
	v_pk_add_f16 v6, v2, v4 op_sel:[0,1] op_sel_hi:[1,0]
	v_pk_add_f16 v2, v2, v4 op_sel:[0,1] op_sel_hi:[1,0] neg_lo:[0,1] neg_hi:[0,1]
	v_mul_u32_u24_e32 v4, 3, v35
	v_pk_add_f16 v7, v3, v5 op_sel:[0,1] op_sel_hi:[1,0]
	v_pk_add_f16 v3, v3, v5 op_sel:[0,1] op_sel_hi:[1,0] neg_lo:[0,1] neg_hi:[0,1]
	v_lshlrev_b32_e32 v8, 2, v8
	v_pk_add_f16 v0, v38, v0
	v_bfi_b32 v5, 0xffff, v6, v2
	v_bfi_b32 v2, 0xffff, v2, v6
	v_lshlrev_b32_e32 v9, 2, v4
	v_bfi_b32 v4, 0xffff, v7, v3
	v_bfi_b32 v3, 0xffff, v3, v7
	v_mul_u32_u24_e32 v6, 3, v36
	v_pk_add_f16 v1, v39, v1
	s_clause 0x7
	scratch_store_b32 off, v20, off offset:24
	scratch_store_b32 off, v11, off offset:28
	;; [unrolled: 1-line block ×8, first 2 shown]
	ds_store_2addr_b32 v8, v0, v5 offset1:1
	ds_store_b32 v8, v2 offset:8
	ds_store_2addr_b32 v9, v1, v4 offset1:1
	scratch_store_b32 off, v9, off offset:52 ; 4-byte Folded Spill
	ds_store_b32 v9, v3 offset:8
	s_and_saveexec_b32 s0, vcc_lo
	s_cbranch_execz .LBB0_7
; %bb.6:
	v_mul_u32_u24_e32 v0, 3, v36
	v_bfi_b32 v1, 0xffff, v24, v25
	v_bfi_b32 v2, 0xffff, v25, v24
	s_delay_alu instid0(VALU_DEP_3)
	v_lshlrev_b32_e32 v0, 2, v0
	ds_store_b32 v0, v26
	ds_store_2addr_b32 v0, v2, v1 offset0:1 offset1:2
.LBB0_7:
	s_wait_alu 0xfffe
	s_or_b32 exec_lo, exec_lo, s0
	v_add_nc_u32_e32 v0, 0x800, v109
	v_add_nc_u32_e32 v1, 0x1000, v109
	global_wb scope:SCOPE_SE
	s_wait_storecnt_dscnt 0x0
	s_barrier_signal -1
	s_barrier_wait -1
	global_inv scope:SCOPE_SE
	ds_load_2addr_b32 v[6:7], v109 offset1:63
	ds_load_2addr_b32 v[20:21], v0 offset0:13 offset1:76
	ds_load_2addr_b32 v[18:19], v1 offset0:26 offset1:89
	;; [unrolled: 1-line block ×4, first 2 shown]
	v_add_nc_u32_e32 v0, 0x200, v109
	v_add_nc_u32_e32 v8, 0xc00, v109
	;; [unrolled: 1-line block ×4, first 2 shown]
	ds_load_2addr_b32 v[22:23], v1 offset0:152 offset1:215
	ds_load_2addr_b32 v[2:3], v0 offset0:124 offset1:187
	;; [unrolled: 1-line block ×7, first 2 shown]
	v_lshrrev_b32_e32 v29, 16, v24
	s_and_saveexec_b32 s0, vcc_lo
	s_cbranch_execz .LBB0_9
; %bb.8:
	ds_load_b32 v25, v109 offset:4116
	ds_load_b32 v24, v109 offset:6216
	;; [unrolled: 1-line block ×3, first 2 shown]
	s_wait_dscnt 0x2
	v_lshrrev_b32_e32 v29, 16, v25
	s_wait_dscnt 0x1
	v_bfi_b32 v25, 0xffff, v25, v24
.LBB0_9:
	s_wait_alu 0xfffe
	s_or_b32 exec_lo, exec_lo, s0
	v_and_b32_e32 v27, 0xff, v150
	v_and_b32_e32 v34, 0xff, v93
	;; [unrolled: 1-line block ×5, first 2 shown]
	v_mul_lo_u16 v28, 0xab, v27
	v_mul_lo_u16 v37, 0xab, v34
	;; [unrolled: 1-line block ×4, first 2 shown]
	v_and_b32_e32 v46, 0xffff, v31
	v_lshrrev_b16 v40, 9, v28
	v_lshrrev_b16 v37, 9, v37
	;; [unrolled: 1-line block ×4, first 2 shown]
	v_and_b32_e32 v28, 0xffff, v90
	v_mul_lo_u16 v41, v40, 3
	v_mul_lo_u16 v42, v37, 3
	v_mul_lo_u16 v43, v38, 3
	v_mul_lo_u16 v44, v39, 3
	v_mul_u32_u24_e32 v51, 0xaaab, v28
	v_sub_nc_u16 v41, v150, v41
	v_sub_nc_u16 v42, v93, v42
	;; [unrolled: 1-line block ×4, first 2 shown]
	v_mul_u32_u24_e32 v45, 0xaaab, v45
	v_and_b32_e32 v41, 0xff, v41
	v_and_b32_e32 v42, 0xff, v42
	;; [unrolled: 1-line block ×4, first 2 shown]
	v_mul_u32_u24_e32 v46, 0xaaab, v46
	v_lshlrev_b32_e32 v47, 3, v41
	v_lshlrev_b32_e32 v48, 3, v42
	v_lshlrev_b32_e32 v49, 3, v43
	v_lshlrev_b32_e32 v50, 3, v44
	v_lshrrev_b32_e32 v45, 17, v45
	s_clause 0x3
	global_load_b64 v[75:76], v47, s[2:3]
	global_load_b64 v[71:72], v48, s[2:3]
	;; [unrolled: 1-line block ×4, first 2 shown]
	v_and_b32_e32 v47, 0xffff, v35
	v_and_b32_e32 v48, 0xffff, v36
	v_lshrrev_b32_e32 v49, 17, v51
	v_lshrrev_b32_e32 v46, 17, v46
	v_mul_lo_u16 v51, v45, 3
	v_mul_u32_u24_e32 v47, 0xaaab, v47
	v_mul_u32_u24_e32 v48, 0xaaab, v48
	v_mul_lo_u16 v50, v49, 3
	v_mul_lo_u16 v52, v46, 3
	v_sub_nc_u16 v51, v30, v51
	v_lshrrev_b32_e32 v47, 17, v47
	v_lshrrev_b32_e32 v48, 17, v48
	v_sub_nc_u16 v50, v90, v50
	v_sub_nc_u16 v31, v31, v52
	v_and_b32_e32 v37, 0xffff, v37
	v_mul_lo_u16 v53, v47, 3
	v_mul_lo_u16 v30, v48, 3
	v_lshlrev_b16 v52, 1, v50
	v_and_b32_e32 v40, 0xffff, v40
	v_and_b32_e32 v38, 0xffff, v38
	v_sub_nc_u16 v35, v35, v53
	v_lshlrev_b16 v53, 1, v51
	v_sub_nc_u16 v36, v36, v30
	v_lshlrev_b16 v30, 1, v31
	v_and_b32_e32 v52, 0xffff, v52
	v_lshlrev_b16 v54, 1, v35
	v_and_b32_e32 v53, 0xffff, v53
	;; [unrolled: 2-line block ×3, first 2 shown]
	v_lshlrev_b32_e32 v52, 2, v52
	v_and_b32_e32 v54, 0xffff, v54
	v_lshlrev_b32_e32 v53, 2, v53
	v_and_b32_e32 v55, 0xffff, v55
	v_lshlrev_b32_e32 v30, 2, v30
	global_load_b64 v[73:74], v52, s[2:3]
	v_and_b32_e32 v39, 0xffff, v39
	global_load_b64 v[69:70], v53, s[2:3]
	v_lshlrev_b32_e32 v52, 2, v54
	v_lshlrev_b32_e32 v53, 2, v55
	s_clause 0x2
	global_load_b64 v[67:68], v30, s[2:3]
	global_load_b64 v[63:64], v52, s[2:3]
	;; [unrolled: 1-line block ×3, first 2 shown]
	v_mul_u32_u24_e32 v37, 9, v37
	v_mad_u16 v49, v49, 9, v50
	v_mad_u16 v45, v45, 9, v51
	;; [unrolled: 1-line block ×5, first 2 shown]
	s_wait_dscnt 0xa
	v_lshrrev_b32_e32 v53, 16, v20
	s_wait_dscnt 0x9
	v_lshrrev_b32_e32 v54, 16, v18
	v_lshrrev_b32_e32 v77, 16, v21
	;; [unrolled: 1-line block ×3, first 2 shown]
	s_wait_dscnt 0x7
	v_lshrrev_b32_e32 v80, 16, v16
	s_wait_dscnt 0x6
	v_lshrrev_b32_e32 v81, 16, v22
	v_lshrrev_b32_e32 v83, 16, v17
	;; [unrolled: 1-line block ×3, first 2 shown]
	v_mul_u32_u24_e32 v40, 9, v40
	v_mul_u32_u24_e32 v38, 9, v38
	;; [unrolled: 1-line block ×3, first 2 shown]
	scratch_store_b32 off, v36, off         ; 4-byte Folded Spill
	v_add_lshl_u32 v115, v37, v42, 2
	v_and_b32_e32 v36, 0xffff, v49
	v_and_b32_e32 v37, 0xffff, v45
	;; [unrolled: 1-line block ×4, first 2 shown]
	s_wait_dscnt 0x4
	v_lshrrev_b32_e32 v86, 16, v14
	s_wait_dscnt 0x3
	v_lshrrev_b32_e32 v87, 16, v12
	v_lshrrev_b32_e32 v89, 16, v15
	;; [unrolled: 1-line block ×3, first 2 shown]
	s_wait_dscnt 0x1
	v_lshrrev_b32_e32 v95, 16, v10
	s_wait_dscnt 0x0
	v_lshrrev_b32_e32 v97, 16, v8
	v_lshrrev_b32_e32 v99, 16, v11
	;; [unrolled: 1-line block ×4, first 2 shown]
	v_add_lshl_u32 v117, v40, v41, 2
	v_add_lshl_u32 v114, v38, v43, 2
	;; [unrolled: 1-line block ×3, first 2 shown]
	v_lshlrev_b32_e32 v108, 2, v36
	v_lshlrev_b32_e32 v107, 2, v37
	;; [unrolled: 1-line block ×4, first 2 shown]
	v_lshrrev_b32_e32 v52, 16, v6
	v_lshrrev_b32_e32 v55, 16, v7
	;; [unrolled: 1-line block ×9, first 2 shown]
	global_wb scope:SCOPE_SE
	s_wait_loadcnt 0x0
	s_wait_storecnt 0x0
	s_barrier_signal -1
	s_barrier_wait -1
	global_inv scope:SCOPE_SE
	scratch_store_b32 off, v117, off offset:64 ; 4-byte Folded Spill
	v_lshrrev_b32_e32 v196, 16, v75
	v_lshrrev_b32_e32 v194, 16, v76
	;; [unrolled: 1-line block ×8, first 2 shown]
	v_mul_f16_e64 v31, v53, v196
	v_mul_f16_e64 v35, v20, v196
	;; [unrolled: 1-line block ×16, first 2 shown]
	v_fma_f16 v20, v20, v75, -v31
	v_fmac_f16_e32 v35, v53, v75
	v_fma_f16 v18, v18, v76, -v36
	v_fmac_f16_e32 v37, v54, v76
	;; [unrolled: 2-line block ×7, first 2 shown]
	v_lshrrev_b32_e32 v188, 16, v73
	v_lshrrev_b32_e32 v186, 16, v74
	;; [unrolled: 1-line block ×4, first 2 shown]
	v_fma_f16 v23, v23, v62, -v48
	v_lshrrev_b32_e32 v123, 16, v67
	v_lshrrev_b32_e32 v121, 16, v68
	;; [unrolled: 1-line block ×6, first 2 shown]
	v_fmac_f16_e32 v49, v84, v62
	v_mul_f16_e64 v38, v86, v188
	v_mul_f16_e64 v40, v14, v188
	;; [unrolled: 1-line block ×4, first 2 shown]
	v_mul_f16_e32 v46, v89, v50
	v_mul_f16_e32 v48, v15, v50
	;; [unrolled: 1-line block ×16, first 2 shown]
	v_fma_f16 v14, v14, v73, -v38
	v_fmac_f16_e32 v40, v86, v73
	v_fma_f16 v12, v12, v74, -v42
	v_fmac_f16_e32 v44, v87, v74
	v_fma_f16 v15, v15, v69, -v46
	v_fmac_f16_e32 v48, v89, v69
	v_fma_f16 v13, v13, v70, -v50
	v_fmac_f16_e32 v51, v94, v70
	v_fma_f16 v10, v10, v67, -v53
	v_fmac_f16_e32 v54, v95, v67
	v_fma_f16 v38, v8, v68, -v77
	v_fmac_f16_e32 v78, v97, v68
	v_fma_f16 v11, v11, v63, -v80
	v_fmac_f16_e32 v81, v99, v63
	v_fma_f16 v42, v9, v64, -v83
	v_fmac_f16_e32 v84, v100, v64
	v_fma_f16 v9, v25, v59, -v102
	v_fmac_f16_e32 v17, v29, v59
	v_fma_f16 v8, v24, v60, -v103
	v_add_f16_e32 v24, v6, v20
	v_add_f16_e32 v25, v20, v18
	v_sub_f16_e32 v29, v35, v37
	v_add_f16_e32 v46, v52, v35
	v_add_f16_e32 v35, v35, v37
	v_add_f16_e32 v50, v7, v21
	v_add_f16_e32 v53, v21, v19
	v_sub_f16_e32 v77, v39, v41
	v_add_f16_e32 v80, v55, v39
	v_add_f16_e32 v39, v39, v41
	;; [unrolled: 5-line block ×4, first 2 shown]
	v_fmac_f16_e32 v16, v101, v60
	v_sub_f16_e32 v20, v20, v18
	v_sub_f16_e32 v21, v21, v19
	;; [unrolled: 1-line block ×4, first 2 shown]
	v_add_f16_e32 v18, v24, v18
	v_fma_f16 v6, -0.5, v25, v6
	v_add_f16_e32 v24, v46, v37
	v_fmac_f16_e32 v52, -0.5, v35
	v_add_f16_e32 v19, v50, v19
	v_fmac_f16_e32 v7, -0.5, v53
	v_add_f16_e32 v35, v80, v41
	v_fmac_f16_e32 v55, -0.5, v39
	v_add_f16_e32 v22, v83, v22
	v_fma_f16 v4, -0.5, v86, v4
	v_add_f16_e32 v37, v89, v45
	v_fmac_f16_e32 v79, -0.5, v43
	v_add_f16_e32 v23, v94, v23
	v_fmac_f16_e32 v5, -0.5, v95
	v_add_f16_e32 v39, v99, v49
	v_fmac_f16_e32 v82, -0.5, v47
	v_add_f16_e32 v41, v14, v12
	v_sub_f16_e32 v43, v40, v44
	v_add_f16_e32 v45, v85, v40
	v_add_f16_e32 v40, v40, v44
	v_add_f16_e32 v47, v15, v13
	v_sub_f16_e32 v49, v48, v51
	v_add_f16_e32 v50, v88, v48
	v_add_f16_e32 v48, v48, v51
	;; [unrolled: 4-line block ×4, first 2 shown]
	v_add_f16_e32 v25, v2, v14
	v_sub_f16_e32 v14, v14, v12
	v_add_f16_e32 v46, v3, v15
	v_sub_f16_e32 v15, v15, v13
	;; [unrolled: 2-line block ×4, first 2 shown]
	v_add_f16_e32 v100, v9, v8
	v_add_f16_e32 v102, v17, v16
	v_fmamk_f16 v104, v29, 0x3aee, v6
	v_fmac_f16_e32 v6, 0xbaee, v29
	v_fmamk_f16 v29, v20, 0xbaee, v52
	v_fmac_f16_e32 v52, 0x3aee, v20
	;; [unrolled: 2-line block ×6, first 2 shown]
	v_fma_f16 v2, -0.5, v41, v2
	v_fmac_f16_e32 v85, -0.5, v40
	v_fmac_f16_e32 v3, -0.5, v47
	;; [unrolled: 1-line block ×3, first 2 shown]
	v_fma_f16 v0, -0.5, v80, v0
	v_fmac_f16_e32 v96, -0.5, v54
	v_fmac_f16_e32 v1, -0.5, v94
	;; [unrolled: 1-line block ×3, first 2 shown]
	v_fmamk_f16 v31, v97, 0x3aee, v5
	v_fmac_f16_e32 v5, 0xbaee, v97
	v_fmamk_f16 v97, v36, 0xbaee, v82
	v_fmac_f16_e32 v82, 0x3aee, v36
	v_sub_f16_e32 v101, v17, v16
	v_sub_f16_e32 v103, v9, v8
	v_add_f16_e32 v12, v25, v12
	v_add_f16_e32 v36, v45, v44
	v_fma_f16 v25, -0.5, v100, v26
	v_fma_f16 v94, -0.5, v102, v30
	v_pack_b32_f16 v18, v18, v24
	v_pack_b32_f16 v19, v19, v35
	;; [unrolled: 1-line block ×4, first 2 shown]
	v_fmamk_f16 v35, v43, 0x3aee, v2
	v_fmac_f16_e32 v2, 0xbaee, v43
	v_fmamk_f16 v37, v14, 0xbaee, v85
	v_fmac_f16_e32 v85, 0x3aee, v14
	;; [unrolled: 2-line block ×8, first 2 shown]
	v_pack_b32_f16 v11, v104, v29
	v_pack_b32_f16 v6, v6, v52
	;; [unrolled: 1-line block ×4, first 2 shown]
	v_add_f16_e32 v13, v46, v13
	v_add_f16_e32 v40, v50, v51
	;; [unrolled: 1-line block ×6, first 2 shown]
	v_pack_b32_f16 v20, v20, v77
	v_pack_b32_f16 v21, v21, v87
	;; [unrolled: 1-line block ×4, first 2 shown]
	v_fmamk_f16 v24, v101, 0x3aee, v25
	v_fmac_f16_e32 v25, 0xbaee, v101
	v_fmamk_f16 v95, v103, 0xbaee, v94
	v_fmac_f16_e32 v94, 0x3aee, v103
	v_pack_b32_f16 v12, v12, v36
	ds_store_2addr_b32 v117, v18, v11 offset1:3
	ds_store_b32 v117, v6 offset:24
	ds_store_2addr_b32 v115, v19, v20 offset1:3
	scratch_store_b32 off, v115, off offset:60 ; 4-byte Folded Spill
	ds_store_b32 v115, v7 offset:24
	ds_store_2addr_b32 v114, v22, v21 offset1:3
	scratch_store_b32 off, v114, off offset:44 ; 4-byte Folded Spill
	ds_store_b32 v114, v4 offset:24
	ds_store_2addr_b32 v112, v23, v29 offset1:3
	v_pack_b32_f16 v4, v35, v37
	v_pack_b32_f16 v2, v2, v85
	;; [unrolled: 1-line block ×8, first 2 shown]
	ds_store_b32 v112, v5 offset:24
	v_pack_b32_f16 v5, v14, v39
	v_pack_b32_f16 v6, v15, v43
	;; [unrolled: 1-line block ×3, first 2 shown]
	s_clause 0x1
	scratch_store_b32 off, v112, off offset:20
	scratch_store_b32 off, v108, off offset:16
	ds_store_2addr_b32 v108, v12, v4 offset1:3
	ds_store_b32 v108, v2 offset:24
	ds_store_2addr_b32 v107, v13, v5 offset1:3
	scratch_store_b32 off, v107, off offset:12 ; 4-byte Folded Spill
	ds_store_b32 v107, v3 offset:24
	ds_store_2addr_b32 v106, v31, v6 offset1:3
	scratch_store_b32 off, v106, off offset:8 ; 4-byte Folded Spill
	;; [unrolled: 3-line block ×3, first 2 shown]
	ds_store_b32 v105, v1 offset:24
	s_and_saveexec_b32 s0, vcc_lo
	s_cbranch_execz .LBB0_11
; %bb.10:
	scratch_load_b32 v2, off, off           ; 4-byte Folded Reload
	v_add_f16_e32 v0, v30, v17
	v_add_f16_e32 v1, v26, v9
	v_perm_b32 v3, v95, v24, 0x5040100
	s_delay_alu instid0(VALU_DEP_3) | instskip(NEXT) | instid1(VALU_DEP_3)
	v_add_f16_e32 v0, v0, v16
	v_add_f16_e32 v1, v1, v8
	s_delay_alu instid0(VALU_DEP_1) | instskip(SKIP_3) | instid1(VALU_DEP_1)
	v_pack_b32_f16 v0, v1, v0
	v_perm_b32 v1, v94, v25, 0x5040100
	s_wait_loadcnt 0x0
	v_and_b32_e32 v2, 0xffff, v2
	v_lshlrev_b32_e32 v2, 2, v2
	ds_store_2addr_b32 v2, v0, v3 offset1:3
	ds_store_b32 v2, v1 offset:24
.LBB0_11:
	s_wait_alu 0xfffe
	s_or_b32 exec_lo, exec_lo, s0
	v_mul_lo_u16 v0, v27, 57
	v_mul_lo_u16 v1, v34, 57
	global_wb scope:SCOPE_SE
	s_wait_storecnt_dscnt 0x0
	s_barrier_signal -1
	s_barrier_wait -1
	v_lshrrev_b16 v12, 9, v0
	v_lshrrev_b16 v21, 9, v1
	global_inv scope:SCOPE_SE
	v_add_nc_u32_e32 v20, 0x800, v109
	v_add_nc_u32_e32 v8, 0x1200, v109
	v_mul_lo_u16 v0, v12, 9
	v_mul_lo_u16 v1, v21, 9
	v_add_nc_u32_e32 v14, 0xe00, v109
	v_add_nc_u32_e32 v23, 0x400, v109
	v_and_b32_e32 v12, 0xffff, v12
	v_sub_nc_u16 v0, v150, v0
	v_sub_nc_u16 v1, v93, v1
	v_add_nc_u32_e32 v129, 0xa00, v109
	v_add_nc_u32_e32 v133, 0x1400, v109
	v_mul_u32_u24_e32 v12, 45, v12
	v_and_b32_e32 v13, 0xff, v0
	v_and_b32_e32 v22, 0xff, v1
	v_add_nc_u32_e32 v135, 0x600, v109
	v_add_nc_u32_e32 v138, 0x1000, v109
	v_and_b32_e32 v21, 0xffff, v21
	v_lshlrev_b32_e32 v0, 4, v13
	v_lshlrev_b32_e32 v1, 4, v22
	v_add_lshl_u32 v177, v12, v13, 2
	s_clause 0x1
	global_load_b128 v[4:7], v0, s[2:3] offset:24
	global_load_b128 v[0:3], v1, s[2:3] offset:24
	ds_load_2addr_b32 v[10:11], v20 offset0:118 offset1:181
	ds_load_2addr_b32 v[8:9], v8 offset0:108 offset1:171
	;; [unrolled: 1-line block ×4, first 2 shown]
	ds_load_b32 v132, v109 offset:6048
	v_mul_u32_u24_e32 v21, 45, v21
	s_delay_alu instid0(VALU_DEP_1)
	v_add_lshl_u32 v195, v21, v22, 2
	s_wait_dscnt 0x4
	v_lshrrev_b32_e32 v15, 16, v11
	s_wait_dscnt 0x3
	v_lshrrev_b32_e32 v16, 16, v8
	v_lshrrev_b32_e32 v17, 16, v9
	;; [unrolled: 1-line block ×3, first 2 shown]
	s_wait_loadcnt 0x1
	v_lshrrev_b32_e32 v203, 16, v7
	s_wait_loadcnt 0x0
	v_lshrrev_b32_e32 v200, 16, v3
	v_lshrrev_b32_e32 v202, 16, v2
	;; [unrolled: 1-line block ×4, first 2 shown]
	v_mul_f16_e64 v18, v16, v203
	v_mul_f16_e64 v19, v17, v200
	;; [unrolled: 1-line block ×4, first 2 shown]
	s_wait_dscnt 0x2
	v_mul_f16_e64 v53, v30, v202
	v_fma_f16 v50, v8, v7, -v18
	v_fma_f16 v51, v9, v3, -v19
	v_lshrrev_b32_e32 v8, 16, v30
	s_wait_dscnt 0x1
	v_lshrrev_b32_e32 v9, 16, v35
	v_mul_f16_e64 v54, v35, v205
	v_lshrrev_b32_e32 v204, 16, v5
	v_mul_f16_e64 v13, v15, v201
	v_fmac_f16_e32 v53, v8, v2
	v_mul_f16_e64 v8, v8, v202
	v_fmac_f16_e32 v54, v9, v0
	v_mul_f16_e64 v9, v9, v205
	v_mul_f16_e64 v12, v14, v204
	v_fma_f16 v47, v11, v1, -v13
	v_fma_f16 v55, v30, v2, -v8
	v_mul_f16_e64 v29, v10, v204
	v_fma_f16 v35, v35, v0, -v9
	ds_load_2addr_b32 v[8:9], v109 offset1:63
	v_fma_f16 v46, v10, v5, -v12
	v_add_f16_e32 v10, v47, v55
	v_mul_f16_e64 v48, v11, v201
	v_sub_f16_e32 v12, v55, v51
	v_fmac_f16_e32 v52, v17, v3
	v_add_nc_u32_e32 v30, 0xc00, v109
	v_lshrrev_b32_e32 v206, 16, v6
	v_fmac_f16_e32 v48, v15, v1
	v_lshrrev_b32_e32 v207, 16, v4
	v_sub_f16_e32 v89, v47, v55
	ds_load_2addr_b32 v[37:38], v30 offset0:114 offset1:177
	v_sub_f16_e32 v97, v54, v52
	v_sub_f16_e32 v87, v48, v53
	;; [unrolled: 1-line block ×3, first 2 shown]
	v_fmac_f16_e32 v29, v14, v5
	v_fmac_f16_e32 v49, v16, v7
	s_wait_dscnt 0x1
	v_fma_f16 v77, -0.5, v10, v9
	v_add_f16_e32 v10, v35, v51
	v_lshrrev_b32_e32 v11, 16, v9
	v_add_f16_e32 v78, v9, v35
	v_lshrrev_b32_e32 v102, 16, v8
	s_delay_alu instid0(VALU_DEP_4) | instskip(SKIP_4) | instid1(VALU_DEP_3)
	v_fmac_f16_e32 v9, -0.5, v10
	v_sub_f16_e32 v10, v47, v35
	v_add_f16_e32 v81, v11, v54
	s_wait_dscnt 0x0
	v_mul_f16_e64 v84, v38, v206
	v_add_f16_e32 v79, v10, v12
	v_add_f16_e32 v10, v48, v53
	v_sub_f16_e32 v12, v53, v52
	v_fmamk_f16 v88, v87, 0xbb9c, v9
	v_fmac_f16_e32 v9, 0x3b9c, v87
	s_delay_alu instid0(VALU_DEP_4) | instskip(SKIP_1) | instid1(VALU_DEP_4)
	v_fma_f16 v80, -0.5, v10, v11
	v_add_f16_e32 v10, v54, v52
	v_fmac_f16_e32 v88, 0x38b4, v97
	s_delay_alu instid0(VALU_DEP_4) | instskip(NEXT) | instid1(VALU_DEP_3)
	v_fmac_f16_e32 v9, 0xb8b4, v97
	v_fmac_f16_e32 v11, -0.5, v10
	v_sub_f16_e32 v10, v48, v54
	s_delay_alu instid0(VALU_DEP_3) | instskip(SKIP_1) | instid1(VALU_DEP_4)
	v_fmac_f16_e32 v9, 0x34f2, v79
	v_fmac_f16_e32 v88, 0x34f2, v79
	v_fmamk_f16 v96, v89, 0x3b9c, v11
	s_delay_alu instid0(VALU_DEP_4)
	v_add_f16_e32 v82, v10, v12
	v_add_nc_u32_e32 v10, 0x200, v109
	v_lshrrev_b32_e32 v12, 16, v38
	v_fmac_f16_e32 v11, 0xbb9c, v89
	v_fmac_f16_e32 v96, 0xb8b4, v98
	ds_load_2addr_b32 v[26:27], v10 offset0:124 offset1:187
	v_fmac_f16_e32 v84, v12, v6
	v_mul_f16_e64 v12, v12, v206
	v_fmac_f16_e32 v11, 0x38b4, v98
	v_fmac_f16_e32 v96, 0x34f2, v82
	s_delay_alu instid0(VALU_DEP_4) | instskip(NEXT) | instid1(VALU_DEP_4)
	v_sub_f16_e32 v108, v29, v84
	v_fma_f16 v86, v38, v6, -v12
	s_delay_alu instid0(VALU_DEP_4) | instskip(NEXT) | instid1(VALU_DEP_2)
	v_fmac_f16_e32 v11, 0x34f2, v82
	v_sub_f16_e32 v114, v46, v86
	s_delay_alu instid0(VALU_DEP_2) | instskip(SKIP_3) | instid1(VALU_DEP_1)
	v_pack_b32_f16 v101, v9, v11
	s_wait_dscnt 0x0
	v_lshrrev_b32_e32 v10, 16, v27
	v_mul_f16_e64 v83, v27, v207
	v_fmac_f16_e32 v83, v10, v4
	v_mul_f16_e64 v10, v10, v207
	s_delay_alu instid0(VALU_DEP_2) | instskip(NEXT) | instid1(VALU_DEP_2)
	v_sub_f16_e32 v107, v83, v49
	v_fma_f16 v85, v27, v4, -v10
	v_add_f16_e32 v10, v46, v86
	s_delay_alu instid0(VALU_DEP_2) | instskip(NEXT) | instid1(VALU_DEP_2)
	v_sub_f16_e32 v9, v85, v46
	v_fma_f16 v99, -0.5, v10, v8
	v_add_f16_e32 v10, v85, v50
	v_sub_f16_e32 v112, v85, v50
	s_delay_alu instid0(VALU_DEP_2) | instskip(SKIP_2) | instid1(VALU_DEP_2)
	v_fma_f16 v100, -0.5, v10, v8
	v_sub_f16_e32 v10, v50, v86
	v_add_f16_e32 v8, v8, v85
	v_add_f16_e32 v103, v9, v10
	v_sub_f16_e32 v9, v83, v29
	v_sub_f16_e32 v10, v49, v84
	s_delay_alu instid0(VALU_DEP_4) | instskip(SKIP_1) | instid1(VALU_DEP_3)
	v_add_f16_e32 v8, v8, v46
	v_sub_f16_e32 v46, v46, v85
	v_add_f16_e32 v104, v9, v10
	v_add_f16_e32 v9, v102, v83
	s_delay_alu instid0(VALU_DEP_4) | instskip(NEXT) | instid1(VALU_DEP_2)
	v_add_f16_e32 v8, v8, v86
	v_add_f16_e32 v9, v9, v29
	s_delay_alu instid0(VALU_DEP_2) | instskip(SKIP_1) | instid1(VALU_DEP_3)
	v_add_f16_e32 v8, v8, v50
	v_sub_f16_e32 v50, v86, v50
	v_add_f16_e32 v9, v9, v84
	s_delay_alu instid0(VALU_DEP_2) | instskip(NEXT) | instid1(VALU_DEP_2)
	v_add_f16_e32 v46, v46, v50
	v_add_f16_e32 v9, v9, v49
	s_delay_alu instid0(VALU_DEP_1) | instskip(SKIP_4) | instid1(VALU_DEP_4)
	v_pack_b32_f16 v105, v8, v9
	v_add_f16_e32 v8, v29, v84
	v_sub_f16_e32 v29, v29, v83
	v_add_f16_e32 v83, v83, v49
	v_sub_f16_e32 v49, v84, v49
	v_fma_f16 v106, -0.5, v8, v102
	v_fmamk_f16 v8, v107, 0x3b9c, v99
	s_delay_alu instid0(VALU_DEP_4) | instskip(NEXT) | instid1(VALU_DEP_4)
	v_fmac_f16_e32 v102, -0.5, v83
	v_add_f16_e32 v29, v29, v49
	v_fmamk_f16 v49, v108, 0xbb9c, v100
	v_fmamk_f16 v9, v112, 0xbb9c, v106
	v_fmac_f16_e32 v8, 0x38b4, v108
	v_fmac_f16_e32 v100, 0x3b9c, v108
	;; [unrolled: 1-line block ×12, first 2 shown]
	v_fmamk_f16 v46, v114, 0x3b9c, v102
	v_fmac_f16_e32 v102, 0xbb9c, v114
	v_pack_b32_f16 v115, v8, v9
	v_mul_u32_u24_e32 v8, 0xe38f, v28
	v_mul_lo_u16 v9, v32, 57
	ds_load_2addr_b32 v[27:28], v109 offset0:126 offset1:189
	ds_load_2addr_b32 v[38:39], v129 offset0:116 offset1:179
	;; [unrolled: 1-line block ×5, first 2 shown]
	v_fmac_f16_e32 v46, 0xb8b4, v112
	v_fmac_f16_e32 v102, 0x38b4, v112
	v_lshrrev_b32_e32 v121, 19, v8
	v_lshrrev_b16 v117, 9, v9
	v_mul_lo_u16 v9, v33, 57
	v_fmac_f16_e32 v46, 0x34f2, v29
	v_fmac_f16_e32 v102, 0x34f2, v29
	;; [unrolled: 1-line block ×3, first 2 shown]
	v_mul_lo_u16 v8, v117, 9
	v_lshrrev_b16 v120, 9, v9
	v_mul_lo_u16 v9, v121, 9
	v_pack_b32_f16 v29, v49, v46
	v_pack_b32_f16 v46, v100, v102
	v_sub_nc_u16 v8, v92, v8
	v_sub_f16_e32 v49, v52, v53
	v_sub_nc_u16 v123, v90, v9
	v_mul_lo_u16 v9, v120, 9
	v_fmac_f16_e32 v99, 0x34f2, v103
	v_and_b32_e32 v126, 0xff, v8
	v_fmac_f16_e32 v106, 0x34f2, v104
	v_lshlrev_b16 v10, 4, v123
	v_sub_nc_u16 v9, v91, v9
	s_delay_alu instid0(VALU_DEP_4) | instskip(NEXT) | instid1(VALU_DEP_3)
	v_lshlrev_b32_e32 v12, 4, v126
	v_and_b32_e32 v10, 0xffff, v10
	s_delay_alu instid0(VALU_DEP_3) | instskip(NEXT) | instid1(VALU_DEP_2)
	v_and_b32_e32 v127, 0xff, v9
	v_add_co_u32 v8, s0, s2, v10
	s_wait_alu 0xf1ff
	v_add_co_ci_u32_e64 v9, null, s3, 0, s0
	s_delay_alu instid0(VALU_DEP_3)
	v_lshlrev_b32_e32 v13, 4, v127
	s_clause 0x2
	global_load_b128 v[8:11], v[8:9], off offset:24
	global_load_b128 v[16:19], v12, s[2:3] offset:24
	global_load_b128 v[12:15], v13, s[2:3] offset:24
	global_wb scope:SCOPE_SE
	s_wait_loadcnt_dscnt 0x0
	s_barrier_signal -1
	s_barrier_wait -1
	global_inv scope:SCOPE_SE
	ds_store_2addr_b32 v177, v29, v46 offset0:18 offset1:27
	v_sub_f16_e32 v29, v35, v47
	v_add_f16_e32 v35, v78, v47
	v_add_f16_e32 v47, v81, v48
	v_sub_f16_e32 v46, v54, v48
	v_sub_f16_e32 v48, v51, v55
	ds_store_2addr_b32 v177, v105, v115 offset1:9
	v_add_f16_e32 v35, v35, v55
	v_add_f16_e32 v47, v47, v53
	;; [unrolled: 1-line block ×4, first 2 shown]
	v_fmamk_f16 v46, v97, 0x3b9c, v77
	v_add_f16_e32 v35, v35, v51
	v_add_f16_e32 v47, v47, v52
	v_and_b32_e32 v48, 0xffff, v117
	v_fmac_f16_e32 v77, 0xbb9c, v97
	v_fmac_f16_e32 v46, 0x38b4, v87
	v_lshrrev_b32_e32 v97, 16, v26
	v_pack_b32_f16 v29, v35, v47
	v_fmamk_f16 v47, v98, 0xbb9c, v80
	v_pack_b32_f16 v35, v99, v106
	v_fmac_f16_e32 v46, 0x34f2, v21
	v_mul_u32_u24_e32 v48, 45, v48
	v_fmac_f16_e32 v80, 0x3b9c, v98
	v_fmac_f16_e32 v47, 0xb8b4, v89
	;; [unrolled: 1-line block ×3, first 2 shown]
	v_cmp_gt_u16_e64 s0, 36, v150
	v_add_lshl_u32 v197, v48, v126, 2
	v_lshrrev_b32_e32 v48, 16, v40
	v_fmac_f16_e32 v47, 0x34f2, v22
	v_fmac_f16_e32 v80, 0x38b4, v89
	;; [unrolled: 1-line block ×3, first 2 shown]
	s_delay_alu instid0(VALU_DEP_3)
	v_pack_b32_f16 v46, v46, v47
	ds_store_b32 v177, v35 offset:144
	ds_store_2addr_b32 v195, v29, v46 offset1:9
	v_pack_b32_f16 v29, v88, v96
	v_lshrrev_b32_e32 v46, 16, v31
	v_fmac_f16_e32 v80, 0x34f2, v22
	v_lshrrev_b32_e32 v22, 16, v27
	ds_store_2addr_b32 v195, v29, v101 offset0:18 offset1:27
	v_lshrrev_b32_e32 v29, 16, v36
	v_lshrrev_b32_e32 v221, 16, v9
	;; [unrolled: 1-line block ×7, first 2 shown]
	v_mul_f16_e64 v35, v29, v210
	v_mul_f16_e64 v47, v46, v209
	v_lshrrev_b32_e32 v214, 16, v15
	v_mul_f16_e64 v49, v40, v211
	v_lshrrev_b32_e32 v217, 16, v12
	v_fma_f16 v35, v36, v16, -v35
	v_mul_f16_e64 v36, v36, v210
	v_fma_f16 v47, v31, v18, -v47
	v_mul_f16_e64 v31, v31, v209
	v_fmac_f16_e32 v49, v48, v19
	v_mul_f16_e64 v48, v48, v211
	v_fmac_f16_e32 v36, v29, v16
	v_lshrrev_b32_e32 v29, 16, v38
	v_fmac_f16_e32 v31, v46, v18
	v_mul_f16_e64 v46, v38, v212
	v_add_f16_e32 v21, v27, v35
	v_sub_f16_e32 v53, v36, v49
	v_lshrrev_b32_e32 v216, 16, v14
	v_sub_f16_e32 v50, v49, v31
	v_fmac_f16_e32 v46, v29, v17
	v_mul_f16_e64 v29, v29, v212
	v_lshrrev_b32_e32 v220, 16, v8
	v_lshrrev_b32_e32 v219, 16, v10
	;; [unrolled: 1-line block ×3, first 2 shown]
	v_add_f16_e32 v52, v46, v31
	v_fma_f16 v29, v38, v17, -v29
	v_fma_f16 v38, v40, v19, -v48
	v_sub_f16_e32 v54, v46, v31
	s_delay_alu instid0(VALU_DEP_4) | instskip(NEXT) | instid1(VALU_DEP_4)
	v_fma_f16 v52, -0.5, v52, v22
	v_sub_f16_e32 v40, v35, v29
	s_delay_alu instid0(VALU_DEP_4)
	v_sub_f16_e32 v48, v38, v47
	v_add_f16_e32 v21, v21, v29
	v_add_f16_e32 v51, v29, v47
	v_sub_f16_e32 v78, v29, v47
	v_sub_f16_e32 v29, v29, v35
	v_add_f16_e32 v40, v40, v48
	v_sub_f16_e32 v48, v36, v46
	v_add_f16_e32 v21, v21, v47
	v_fma_f16 v51, -0.5, v51, v27
	s_delay_alu instid0(VALU_DEP_3) | instskip(SKIP_1) | instid1(VALU_DEP_4)
	v_add_f16_e32 v48, v48, v50
	v_add_f16_e32 v50, v22, v36
	;; [unrolled: 1-line block ×3, first 2 shown]
	s_delay_alu instid0(VALU_DEP_4) | instskip(SKIP_1) | instid1(VALU_DEP_4)
	v_fmamk_f16 v55, v53, 0x3b9c, v51
	v_fmac_f16_e32 v51, 0xbb9c, v53
	v_add_f16_e32 v50, v50, v46
	s_delay_alu instid0(VALU_DEP_3) | instskip(NEXT) | instid1(VALU_DEP_3)
	v_fmac_f16_e32 v55, 0x38b4, v54
	v_fmac_f16_e32 v51, 0xb8b4, v54
	s_delay_alu instid0(VALU_DEP_3) | instskip(SKIP_1) | instid1(VALU_DEP_4)
	v_add_f16_e32 v50, v50, v31
	v_sub_f16_e32 v31, v31, v49
	v_fmac_f16_e32 v55, 0x34f2, v40
	s_delay_alu instid0(VALU_DEP_4) | instskip(NEXT) | instid1(VALU_DEP_4)
	v_fmac_f16_e32 v51, 0x34f2, v40
	v_add_f16_e32 v50, v50, v49
	s_delay_alu instid0(VALU_DEP_1) | instskip(SKIP_3) | instid1(VALU_DEP_2)
	v_pack_b32_f16 v21, v21, v50
	v_pack_b32_f16 v50, v77, v80
	v_sub_f16_e32 v77, v35, v38
	v_add_f16_e32 v35, v35, v38
	v_fmamk_f16 v79, v77, 0xbb9c, v52
	s_delay_alu instid0(VALU_DEP_2) | instskip(SKIP_2) | instid1(VALU_DEP_4)
	v_fma_f16 v27, -0.5, v35, v27
	v_mul_f16_e64 v35, v41, v214
	v_fmac_f16_e32 v52, 0x3b9c, v77
	v_fmac_f16_e32 v79, 0xb8b4, v78
	s_delay_alu instid0(VALU_DEP_2) | instskip(NEXT) | instid1(VALU_DEP_2)
	v_fmac_f16_e32 v52, 0x38b4, v78
	v_fmac_f16_e32 v79, 0x34f2, v48
	s_delay_alu instid0(VALU_DEP_2) | instskip(NEXT) | instid1(VALU_DEP_2)
	v_fmac_f16_e32 v52, 0x34f2, v48
	v_pack_b32_f16 v55, v55, v79
	ds_store_b32 v195, v50 offset:144
	ds_store_2addr_b32 v197, v21, v55 offset1:9
	v_sub_f16_e32 v21, v46, v36
	v_add_f16_e32 v36, v36, v49
	v_sub_f16_e32 v46, v47, v38
	v_mul_f16_e64 v38, v44, v216
	s_delay_alu instid0(VALU_DEP_4)
	v_add_f16_e32 v21, v21, v31
	v_fmamk_f16 v31, v54, 0xbb9c, v27
	v_fmac_f16_e32 v27, 0x3b9c, v54
	v_add_f16_e32 v29, v29, v46
	v_fmac_f16_e32 v22, -0.5, v36
	v_and_b32_e32 v36, 0xffff, v120
	v_fmac_f16_e32 v31, 0x38b4, v53
	v_fmac_f16_e32 v27, 0xb8b4, v53
	s_delay_alu instid0(VALU_DEP_3) | instskip(NEXT) | instid1(VALU_DEP_3)
	v_mul_u32_u24_e32 v36, 45, v36
	v_fmac_f16_e32 v31, 0x34f2, v29
	s_delay_alu instid0(VALU_DEP_3) | instskip(SKIP_4) | instid1(VALU_DEP_4)
	v_fmac_f16_e32 v27, 0x34f2, v29
	v_fmamk_f16 v29, v78, 0x3b9c, v22
	v_fmac_f16_e32 v22, 0xbb9c, v78
	v_add_lshl_u32 v198, v36, v127, 2
	v_lshrrev_b32_e32 v36, 16, v44
	v_fmac_f16_e32 v29, 0xb8b4, v77
	s_delay_alu instid0(VALU_DEP_4) | instskip(NEXT) | instid1(VALU_DEP_3)
	v_fmac_f16_e32 v22, 0x38b4, v77
	v_fmac_f16_e32 v38, v36, v14
	v_mul_f16_e64 v36, v36, v216
	s_delay_alu instid0(VALU_DEP_4) | instskip(NEXT) | instid1(VALU_DEP_4)
	v_fmac_f16_e32 v29, 0x34f2, v21
	v_fmac_f16_e32 v22, 0x34f2, v21
	s_delay_alu instid0(VALU_DEP_3) | instskip(NEXT) | instid1(VALU_DEP_3)
	v_fma_f16 v36, v44, v14, -v36
	v_pack_b32_f16 v21, v31, v29
	s_delay_alu instid0(VALU_DEP_3)
	v_pack_b32_f16 v22, v27, v22
	v_mul_f16_e64 v27, v39, v215
	v_lshrrev_b32_e32 v29, 16, v41
	ds_store_2addr_b32 v197, v21, v22 offset0:18 offset1:27
	v_lshrrev_b32_e32 v21, 16, v39
	v_mul_f16_e64 v31, v29, v214
	v_fmac_f16_e32 v35, v29, v15
	v_mul_f16_e64 v29, v42, v217
	s_delay_alu instid0(VALU_DEP_4) | instskip(SKIP_3) | instid1(VALU_DEP_4)
	v_mul_f16_e64 v22, v21, v215
	v_fmac_f16_e32 v27, v21, v13
	v_lshrrev_b32_e32 v21, 16, v42
	v_fma_f16 v31, v41, v15, -v31
	v_fma_f16 v22, v39, v13, -v22
	s_delay_alu instid0(VALU_DEP_4) | instskip(NEXT) | instid1(VALU_DEP_4)
	v_add_f16_e32 v47, v27, v38
	v_fmac_f16_e32 v29, v21, v12
	v_mul_f16_e64 v21, v21, v217
	v_sub_f16_e32 v41, v31, v36
	v_add_f16_e32 v46, v22, v36
	v_sub_f16_e32 v49, v27, v38
	v_sub_f16_e32 v48, v29, v35
	v_fma_f16 v21, v42, v12, -v21
	v_sub_f16_e32 v42, v35, v38
	v_sub_f16_e32 v53, v22, v36
	v_fma_f16 v46, -0.5, v46, v28
	s_delay_alu instid0(VALU_DEP_4) | instskip(SKIP_1) | instid1(VALU_DEP_3)
	v_sub_f16_e32 v39, v21, v22
	v_add_f16_e32 v40, v28, v21
	v_fmamk_f16 v50, v48, 0x3b9c, v46
	v_fmac_f16_e32 v46, 0xbb9c, v48
	s_delay_alu instid0(VALU_DEP_4)
	v_add_f16_e32 v39, v39, v41
	v_sub_f16_e32 v41, v29, v27
	v_add_f16_e32 v40, v40, v22
	v_sub_f16_e32 v22, v22, v21
	v_fmac_f16_e32 v50, 0x38b4, v49
	v_fmac_f16_e32 v46, 0xb8b4, v49
	v_add_f16_e32 v41, v41, v42
	v_lshrrev_b32_e32 v42, 16, v28
	v_add_f16_e32 v40, v40, v36
	v_fmac_f16_e32 v50, 0x34f2, v39
	v_fmac_f16_e32 v46, 0x34f2, v39
	s_delay_alu instid0(VALU_DEP_4) | instskip(NEXT) | instid1(VALU_DEP_4)
	v_add_f16_e32 v44, v42, v29
	v_add_f16_e32 v40, v40, v31
	v_fma_f16 v47, -0.5, v47, v42
	s_delay_alu instid0(VALU_DEP_3) | instskip(SKIP_2) | instid1(VALU_DEP_3)
	v_add_f16_e32 v44, v44, v27
	v_sub_f16_e32 v27, v27, v29
	v_add_f16_e32 v29, v29, v35
	v_add_f16_e32 v44, v44, v38
	s_delay_alu instid0(VALU_DEP_2) | instskip(NEXT) | instid1(VALU_DEP_2)
	v_fmac_f16_e32 v42, -0.5, v29
	v_add_f16_e32 v44, v44, v35
	v_sub_f16_e32 v35, v38, v35
	s_delay_alu instid0(VALU_DEP_3) | instskip(SKIP_1) | instid1(VALU_DEP_4)
	v_fmamk_f16 v29, v53, 0x3b9c, v42
	v_fmac_f16_e32 v42, 0xbb9c, v53
	v_pack_b32_f16 v40, v40, v44
	v_pack_b32_f16 v44, v51, v52
	v_sub_f16_e32 v51, v21, v31
	v_add_f16_e32 v21, v21, v31
	v_sub_f16_e32 v31, v36, v31
	s_delay_alu instid0(VALU_DEP_3) | instskip(NEXT) | instid1(VALU_DEP_3)
	v_fmamk_f16 v52, v51, 0xbb9c, v47
	v_fmac_f16_e32 v28, -0.5, v21
	s_delay_alu instid0(VALU_DEP_3)
	v_add_f16_e32 v21, v22, v31
	v_add_f16_e32 v22, v27, v35
	v_fmac_f16_e32 v42, 0x38b4, v51
	v_fmac_f16_e32 v29, 0xb8b4, v51
	v_fmamk_f16 v27, v49, 0xbb9c, v28
	v_fmac_f16_e32 v28, 0x3b9c, v49
	v_fmac_f16_e32 v52, 0xb8b4, v53
	;; [unrolled: 1-line block ×7, first 2 shown]
	v_mul_f16_e64 v35, v37, v221
	v_fmac_f16_e32 v47, 0x3b9c, v51
	v_fmac_f16_e32 v27, 0x34f2, v21
	;; [unrolled: 1-line block ×3, first 2 shown]
	v_pack_b32_f16 v50, v50, v52
	ds_store_b32 v197, v44 offset:144
	ds_store_2addr_b32 v198, v40, v50 offset1:9
	v_pack_b32_f16 v28, v28, v42
	v_pack_b32_f16 v21, v27, v29
	v_lshrrev_b32_e32 v27, 16, v37
	v_mul_f16_e64 v29, v43, v220
	v_mul_f16_e64 v40, v132, v218
	v_fmac_f16_e32 v47, 0x38b4, v53
	ds_store_2addr_b32 v198, v21, v28 offset0:18 offset1:27
	v_mul_f16_e64 v28, v27, v221
	v_lshrrev_b32_e32 v21, 16, v43
	v_fmac_f16_e32 v35, v27, v9
	v_fmac_f16_e32 v47, 0x34f2, v41
	v_mad_u16 v41, v121, 45, v123
	v_fma_f16 v31, v37, v9, -v28
	v_lshrrev_b32_e32 v28, 16, v45
	v_mul_f16_e64 v22, v21, v220
	v_fmac_f16_e32 v29, v21, v8
	v_lshrrev_b32_e32 v21, 16, v132
	v_mul_f16_e64 v37, v45, v219
	v_mul_f16_e64 v36, v28, v219
	v_fma_f16 v22, v43, v8, -v22
	v_add_f16_e32 v43, v97, v29
	v_mul_f16_e64 v27, v21, v218
	v_fmac_f16_e32 v40, v21, v11
	v_fma_f16 v36, v45, v10, -v36
	v_fmac_f16_e32 v37, v28, v10
	v_add_f16_e32 v42, v26, v22
	v_fma_f16 v38, v132, v11, -v27
	v_add_f16_e32 v43, v43, v35
	v_add_f16_e32 v21, v31, v36
	v_sub_f16_e32 v39, v40, v37
	v_add_f16_e32 v42, v42, v31
	v_sub_f16_e32 v28, v38, v36
	v_add_f16_e32 v45, v35, v37
	v_fma_f16 v27, -0.5, v21, v26
	v_sub_f16_e32 v21, v22, v31
	v_add_f16_e32 v42, v42, v36
	v_add_f16_e32 v43, v43, v37
	v_fma_f16 v98, -0.5, v45, v97
	v_sub_f16_e32 v45, v22, v38
	v_add_f16_e32 v21, v21, v28
	v_sub_f16_e32 v28, v29, v35
	v_add_f16_e32 v42, v42, v38
	v_add_f16_e32 v43, v43, v40
	v_sub_f16_e32 v44, v35, v37
	v_fmamk_f16 v96, v45, 0xbb9c, v98
	v_add_f16_e32 v39, v28, v39
	v_pack_b32_f16 v28, v46, v47
	v_sub_f16_e32 v46, v31, v36
	v_sub_f16_e32 v31, v31, v22
	v_add_f16_e32 v22, v22, v38
	v_sub_f16_e32 v36, v36, v38
	v_pack_b32_f16 v42, v42, v43
	v_sub_f16_e32 v43, v29, v40
	ds_store_b32 v198, v28 offset:144
	v_fmac_f16_e32 v26, -0.5, v22
	v_add_f16_e32 v22, v31, v36
	v_add_f16_e32 v31, v29, v40
	v_fmamk_f16 v28, v43, 0x3b9c, v27
	v_fmac_f16_e32 v27, 0xbb9c, v43
	v_fmac_f16_e32 v98, 0x3b9c, v45
	;; [unrolled: 1-line block ×3, first 2 shown]
	v_fmac_f16_e32 v97, -0.5, v31
	v_sub_f16_e32 v31, v35, v29
	v_fmamk_f16 v29, v44, 0xbb9c, v26
	v_fmac_f16_e32 v26, 0x3b9c, v44
	v_sub_f16_e32 v35, v37, v40
	v_fmamk_f16 v99, v46, 0x3b9c, v97
	v_fmac_f16_e32 v97, 0xbb9c, v46
	v_fmac_f16_e32 v29, 0x38b4, v43
	;; [unrolled: 1-line block ×8, first 2 shown]
	v_add_f16_e32 v22, v31, v35
	v_fmac_f16_e32 v27, 0xb8b4, v44
	v_fmac_f16_e32 v98, 0x38b4, v46
	;; [unrolled: 1-line block ×3, first 2 shown]
	v_and_b32_e32 v41, 0xffff, v41
	v_fmac_f16_e32 v96, 0x34f2, v39
	v_fmac_f16_e32 v99, 0x34f2, v22
	;; [unrolled: 1-line block ×5, first 2 shown]
	v_lshlrev_b32_e32 v199, 2, v41
	v_pack_b32_f16 v41, v28, v96
	v_pack_b32_f16 v22, v29, v99
	;; [unrolled: 1-line block ×4, first 2 shown]
	ds_store_2addr_b32 v199, v42, v41 offset1:9
	ds_store_2addr_b32 v199, v22, v31 offset0:18 offset1:27
	ds_store_b32 v199, v21 offset:144
	global_wb scope:SCOPE_SE
	s_wait_dscnt 0x0
	s_barrier_signal -1
	s_barrier_wait -1
	global_inv scope:SCOPE_SE
	ds_load_2addr_b32 v[88:89], v135 offset0:66 offset1:129
	ds_load_2addr_b32 v[50:51], v20 offset0:64 offset1:163
	;; [unrolled: 1-line block ×8, first 2 shown]
	ds_load_b32 v102, v109 offset:5904
                                        ; implicit-def: $vgpr100
                                        ; implicit-def: $vgpr101
	ds_load_2addr_b32 v[54:55], v109 offset1:63
	ds_load_2addr_b32 v[30:31], v109 offset0:126 offset1:225
	s_and_saveexec_b32 s1, s0
	s_cbranch_execz .LBB0_13
; %bb.12:
	v_add_nc_u32_e32 v20, 0x280, v109
	v_add_nc_u32_e32 v21, 0x9c0, v109
	;; [unrolled: 1-line block ×3, first 2 shown]
	ds_load_2addr_b32 v[28:29], v20 offset0:29 offset1:254
	ds_load_2addr_b32 v[26:27], v21 offset0:15 offset1:240
	;; [unrolled: 1-line block ×3, first 2 shown]
	ds_load_b32 v100, v109 offset:6156
	s_wait_dscnt 0x3
	v_lshrrev_b32_e32 v96, 16, v28
	v_lshrrev_b32_e32 v99, 16, v29
	s_wait_dscnt 0x2
	v_lshrrev_b32_e32 v97, 16, v26
	v_lshrrev_b32_e32 v98, 16, v27
	;; [unrolled: 3-line block ×3, first 2 shown]
	s_wait_dscnt 0x0
	v_lshrrev_b32_e32 v101, 16, v100
.LBB0_13:
	s_wait_alu 0xfffe
	s_or_b32 exec_lo, exec_lo, s1
	v_mul_lo_u16 v23, 0x6d, v34
	v_mul_lo_u16 v32, 0x6d, v32
	v_subrev_nc_u32_e32 v20, 45, v150
	v_cmp_gt_u16_e64 s1, 45, v150
	s_wait_dscnt 0x1
	v_lshrrev_b32_e32 v41, 16, v54
	v_lshrrev_b16 v23, 8, v23
	v_lshrrev_b16 v32, 8, v32
	s_wait_alu 0xf1ff
	v_cndmask_b32_e64 v22, v20, v150, s1
	s_delay_alu instid0(VALU_DEP_3) | instskip(NEXT) | instid1(VALU_DEP_2)
	v_sub_nc_u16 v34, v93, v23
	v_mul_i32_i24_e32 v20, 24, v22
	v_mul_hi_i32_i24_e32 v21, 24, v22
	s_delay_alu instid0(VALU_DEP_3) | instskip(NEXT) | instid1(VALU_DEP_3)
	v_lshrrev_b16 v34, 1, v34
	v_add_co_u32 v20, s1, s2, v20
	s_delay_alu instid0(VALU_DEP_2) | instskip(SKIP_3) | instid1(VALU_DEP_3)
	v_and_b32_e32 v34, 0x7f, v34
	s_wait_alu 0xf1ff
	v_add_co_ci_u32_e64 v21, s1, s3, v21, s1
	v_cmp_lt_u16_e64 s1, 44, v150
	v_add_nc_u16 v23, v34, v23
	v_sub_nc_u16 v34, v92, v32
	s_delay_alu instid0(VALU_DEP_2) | instskip(NEXT) | instid1(VALU_DEP_2)
	v_lshrrev_b16 v139, 5, v23
	v_lshrrev_b16 v34, 1, v34
	s_delay_alu instid0(VALU_DEP_1) | instskip(NEXT) | instid1(VALU_DEP_1)
	v_and_b32_e32 v34, 0x7f, v34
	v_add_nc_u16 v36, v34, v32
	v_mul_lo_u16 v32, 0x6d, v33
	s_delay_alu instid0(VALU_DEP_2) | instskip(NEXT) | instid1(VALU_DEP_2)
	v_lshrrev_b16 v142, 5, v36
	v_lshrrev_b16 v32, 8, v32
	s_delay_alu instid0(VALU_DEP_1) | instskip(NEXT) | instid1(VALU_DEP_1)
	v_sub_nc_u16 v33, v91, v32
	v_lshrrev_b16 v33, 1, v33
	s_delay_alu instid0(VALU_DEP_1) | instskip(NEXT) | instid1(VALU_DEP_1)
	v_and_b32_e32 v33, 0x7f, v33
	v_add_nc_u16 v37, v33, v32
	s_wait_alu 0xf1ff
	v_cndmask_b32_e64 v32, 0, 0x13b, s1
	s_delay_alu instid0(VALU_DEP_1)
	v_add_lshl_u32 v213, v22, v32, 2
	s_clause 0x1
	global_load_b64 v[79:80], v[20:21], off offset:184
	global_load_b128 v[32:35], v[20:21], off offset:168
	s_wait_dscnt 0x0
	v_lshrrev_b32_e32 v20, 16, v31
	v_lshrrev_b32_e32 v22, 16, v84
	s_wait_loadcnt 0x1
	v_lshrrev_b32_e32 v228, 16, v80
	s_wait_loadcnt 0x0
	v_lshrrev_b32_e32 v232, 16, v32
	v_lshrrev_b32_e32 v233, 16, v33
	;; [unrolled: 1-line block ×4, first 2 shown]
	v_mul_f16_e64 v38, v84, v228
	v_mul_f16_e64 v21, v31, v232
	v_lshrrev_b32_e32 v234, 16, v35
	s_delay_alu instid0(VALU_DEP_3) | instskip(NEXT) | instid1(VALU_DEP_3)
	v_fmac_f16_e32 v38, v22, v80
	v_fmac_f16_e32 v21, v20, v32
	v_mul_f16_e64 v20, v20, v232
	v_mul_f16_e64 v22, v22, v228
	s_delay_alu instid0(VALU_DEP_3) | instskip(NEXT) | instid1(VALU_DEP_3)
	v_add_f16_e32 v104, v21, v38
	v_fma_f16 v20, v31, v32, -v20
	s_delay_alu instid0(VALU_DEP_3) | instskip(SKIP_3) | instid1(VALU_DEP_4)
	v_fma_f16 v22, v84, v80, -v22
	v_sub_f16_e32 v105, v21, v38
	v_mul_f16_e64 v21, v88, v233
	v_mul_f16_e64 v38, v47, v230
	v_add_f16_e32 v31, v20, v22
	v_sub_f16_e32 v103, v20, v22
	v_lshrrev_b32_e32 v20, 16, v88
	v_lshrrev_b32_e32 v22, 16, v47
	s_delay_alu instid0(VALU_DEP_2) | instskip(SKIP_1) | instid1(VALU_DEP_3)
	v_fmac_f16_e32 v21, v20, v33
	v_mul_f16_e64 v20, v20, v233
	v_fmac_f16_e32 v38, v22, v79
	v_mul_f16_e64 v22, v22, v230
	s_delay_alu instid0(VALU_DEP_3) | instskip(NEXT) | instid1(VALU_DEP_3)
	v_fma_f16 v20, v88, v33, -v20
	v_add_f16_e32 v106, v21, v38
	s_delay_alu instid0(VALU_DEP_3)
	v_fma_f16 v22, v47, v79, -v22
	v_sub_f16_e32 v107, v21, v38
	v_mul_f16_e64 v21, v51, v235
	v_mul_f16_e64 v38, v86, v234
	v_add_f16_e32 v40, v106, v104
	v_add_f16_e32 v47, v20, v22
	v_sub_f16_e32 v88, v20, v22
	v_lshrrev_b32_e32 v20, 16, v51
	v_lshrrev_b32_e32 v22, 16, v86
	s_delay_alu instid0(VALU_DEP_2) | instskip(SKIP_1) | instid1(VALU_DEP_3)
	v_fmac_f16_e32 v21, v20, v34
	v_mul_f16_e64 v20, v20, v235
	v_fmac_f16_e32 v38, v22, v35
	v_mul_f16_e64 v22, v22, v234
	s_delay_alu instid0(VALU_DEP_3) | instskip(NEXT) | instid1(VALU_DEP_2)
	v_fma_f16 v20, v51, v34, -v20
	v_fma_f16 v22, v86, v35, -v22
	s_delay_alu instid0(VALU_DEP_1)
	v_add_f16_e32 v39, v20, v22
	v_sub_f16_e32 v20, v22, v20
	v_add_f16_e32 v22, v21, v38
	v_sub_f16_e32 v21, v38, v21
	;; [unrolled: 2-line block ×3, first 2 shown]
	v_sub_f16_e32 v114, v103, v20
	v_add_f16_e32 v40, v22, v40
	v_sub_f16_e32 v112, v22, v106
	v_add_f16_e32 v38, v39, v38
	v_sub_f16_e32 v115, v105, v21
	s_delay_alu instid0(VALU_DEP_4) | instskip(NEXT) | instid1(VALU_DEP_3)
	v_add_f16_e32 v41, v41, v40
	v_add_f16_e32 v42, v54, v38
	s_delay_alu instid0(VALU_DEP_2) | instskip(SKIP_1) | instid1(VALU_DEP_3)
	v_fmamk_f16 v54, v40, 0xbcab, v41
	v_sub_f16_e32 v40, v20, v88
	v_fmamk_f16 v51, v38, 0xbcab, v42
	v_sub_f16_e32 v38, v31, v39
	v_pack_b32_f16 v86, v42, v41
	v_sub_f16_e32 v39, v104, v22
	v_add_f16_e32 v22, v20, v88
	v_add_f16_e32 v20, v21, v107
	v_sub_f16_e32 v41, v21, v107
	v_mul_f16_e32 v123, 0x3a52, v38
	v_mul_f16_e32 v120, 0xb846, v40
	v_mul_f16_e32 v126, 0x3a52, v39
	v_add_f16_e32 v121, v20, v105
	v_mul_f16_e32 v127, 0xb846, v41
	v_fmamk_f16 v20, v108, 0x2b26, v123
	v_add_f16_e32 v117, v22, v103
	v_fma_f16 v129, 0x3574, v114, v120
	v_mul_lo_u16 v22, v142, 45
	v_fma_f16 v132, 0x3574, v115, v127
	v_add_f16_e64 v133, v20, v51
	v_fmamk_f16 v20, v112, 0x2b26, v126
	v_fmac_f16_e64 v129, 0x370e, v117
	v_sub_nc_u16 v22, v92, v22
	v_fmac_f16_e64 v132, 0x370e, v121
	v_sub_f16_e32 v31, v47, v31
	v_add_f16_e64 v135, v20, v54
	v_sub_f16_e32 v47, v106, v104
	v_and_b32_e32 v146, 0xff, v22
	v_add_f16_e64 v20, v132, v133
	v_mul_f16_e32 v106, 0x2b26, v112
	v_sub_f16_e64 v21, v135, v129
	s_delay_alu instid0(VALU_DEP_2) | instskip(NEXT) | instid1(VALU_DEP_2)
	v_fma_f16 v106, v47, 0x39e0, -v106
	v_pack_b32_f16 v138, v20, v21
	v_lshrrev_b16 v20, 5, v37
	v_mul_lo_u16 v21, v139, 45
	v_fma_f16 v47, v47, 0xb9e0, -v126
	s_delay_alu instid0(VALU_DEP_3) | instskip(NEXT) | instid1(VALU_DEP_3)
	v_mul_lo_u16 v20, v20, 45
	v_sub_nc_u16 v21, v93, v21
	s_delay_alu instid0(VALU_DEP_3) | instskip(NEXT) | instid1(VALU_DEP_3)
	v_add_f16_e32 v47, v47, v54
	v_sub_nc_u16 v20, v91, v20
	s_delay_alu instid0(VALU_DEP_3) | instskip(NEXT) | instid1(VALU_DEP_2)
	v_and_b32_e32 v145, 0xff, v21
	v_and_b32_e32 v22, 0xff, v20
	s_delay_alu instid0(VALU_DEP_2)
	v_mad_co_u64_u32 v[20:21], null, v145, 24, s[2:3]
	s_clause 0x1
	global_load_b64 v[83:84], v[20:21], off offset:184
	global_load_b128 v[40:43], v[20:21], off offset:168
	v_mad_co_u64_u32 v[20:21], null, v146, 24, s[2:3]
	scratch_store_b32 off, v22, off offset:68 ; 4-byte Folded Spill
	v_mad_co_u64_u32 v[22:23], null, v22, 24, s[2:3]
	s_clause 0x3
	global_load_b64 v[81:82], v[20:21], off offset:184
	global_load_b128 v[36:39], v[20:21], off offset:168
	global_load_b64 v[77:78], v[22:23], off offset:184
	global_load_b128 v[20:23], v[22:23], off offset:168
	global_wb scope:SCOPE_SE
	s_wait_loadcnt 0x0
	s_wait_storecnt 0x0
	s_barrier_signal -1
	s_barrier_wait -1
	global_inv scope:SCOPE_SE
	ds_store_2addr_b32 v213, v86, v138 offset1:45
	v_sub_f16_e32 v86, v88, v103
	v_sub_f16_e32 v88, v107, v105
	v_mul_f16_e32 v103, 0x2b26, v108
	s_delay_alu instid0(VALU_DEP_3) | instskip(SKIP_1) | instid1(VALU_DEP_4)
	v_fma_f16 v104, v86, 0x3b00, -v120
	v_mul_f16_e32 v86, 0x3b00, v86
	v_fma_f16 v105, v88, 0x3b00, -v127
	v_mul_f16_e32 v88, 0x3b00, v88
	v_fma_f16 v103, v31, 0x39e0, -v103
	v_fma_f16 v31, v31, 0xb9e0, -v123
	;; [unrolled: 1-line block ×3, first 2 shown]
	v_fmac_f16_e32 v104, 0x370e, v117
	v_fma_f16 v88, v115, 0xb574, -v88
	v_fmac_f16_e32 v105, 0x370e, v121
	v_add_f16_e32 v31, v31, v51
	v_fmac_f16_e32 v86, 0x370e, v117
	v_add_f16_e32 v103, v103, v51
	;; [unrolled: 2-line block ×3, first 2 shown]
	s_delay_alu instid0(VALU_DEP_4) | instskip(SKIP_1) | instid1(VALU_DEP_4)
	v_sub_f16_e32 v106, v47, v86
	v_add_f16_e32 v47, v86, v47
	v_add_f16_e32 v54, v88, v31
	s_delay_alu instid0(VALU_DEP_4)
	v_add_f16_e32 v107, v104, v51
	v_sub_f16_e32 v51, v51, v104
	v_sub_f16_e32 v31, v31, v88
	v_lshrrev_b32_e32 v88, 16, v85
	v_pack_b32_f16 v54, v54, v106
	v_sub_f16_e32 v106, v103, v105
	v_add_f16_e64 v104, v129, v135
	v_pack_b32_f16 v31, v31, v47
	s_delay_alu instid0(VALU_DEP_3) | instskip(SKIP_4) | instid1(VALU_DEP_3)
	v_pack_b32_f16 v106, v106, v107
	ds_store_2addr_b32 v213, v54, v106 offset0:90 offset1:135
	v_add_f16_e32 v54, v105, v103
	v_sub_f16_e64 v103, v133, v132
	v_and_b32_e32 v105, 0xffff, v139
	v_pack_b32_f16 v51, v54, v51
	v_lshrrev_b32_e32 v54, 16, v87
	s_delay_alu instid0(VALU_DEP_3)
	v_mul_u32_u24_e32 v105, 0x13b, v105
	ds_store_2addr_b32 v213, v51, v31 offset0:180 offset1:225
	v_lshrrev_b32_e32 v31, 16, v89
	v_add_lshl_u32 v222, v105, v145, 2
	v_lshrrev_b32_e32 v105, 16, v55
	v_lshrrev_b32_e32 v236, 16, v84
	;; [unrolled: 1-line block ×7, first 2 shown]
	v_mul_f16_e64 v47, v31, v240
	v_mul_f16_e64 v51, v89, v240
	;; [unrolled: 1-line block ×3, first 2 shown]
	v_lshrrev_b32_e32 v249, 16, v36
	v_lshrrev_b32_e32 v247, 16, v37
	v_fma_f16 v47, v89, v41, -v47
	v_mul_f16_e64 v89, v88, v236
	v_fma_f16 v86, v87, v43, -v86
	v_mul_f16_e64 v87, v87, v238
	v_fmac_f16_e32 v51, v31, v41
	v_pack_b32_f16 v31, v103, v104
	v_fma_f16 v89, v85, v84, -v89
	v_mul_f16_e64 v85, v85, v236
	v_fmac_f16_e32 v87, v54, v43
	v_lshrrev_b32_e32 v54, 16, v52
	v_mul_f16_e64 v103, v44, v241
	v_mul_f16_e64 v104, v48, v243
	v_fmac_f16_e32 v85, v88, v84
	v_mul_f16_e64 v88, v52, v242
	v_lshrrev_b32_e32 v248, 16, v38
	v_lshrrev_b32_e32 v245, 16, v81
	;; [unrolled: 1-line block ×4, first 2 shown]
	v_fmac_f16_e32 v88, v54, v40
	v_mul_f16_e64 v54, v54, v242
	s_delay_alu instid0(VALU_DEP_1) | instskip(NEXT) | instid1(VALU_DEP_1)
	v_fma_f16 v52, v52, v40, -v54
	v_add_f16_e32 v54, v52, v89
	v_sub_f16_e32 v52, v52, v89
	v_add_f16_e32 v89, v88, v85
	v_sub_f16_e32 v85, v88, v85
	v_lshrrev_b32_e32 v88, 16, v44
	s_delay_alu instid0(VALU_DEP_1) | instskip(SKIP_1) | instid1(VALU_DEP_1)
	v_fmac_f16_e32 v103, v88, v83
	v_mul_f16_e64 v88, v88, v241
	v_fma_f16 v44, v44, v83, -v88
	s_delay_alu instid0(VALU_DEP_1) | instskip(SKIP_4) | instid1(VALU_DEP_3)
	v_add_f16_e32 v88, v47, v44
	v_sub_f16_e32 v44, v47, v44
	v_add_f16_e32 v47, v51, v103
	v_sub_f16_e32 v51, v51, v103
	v_lshrrev_b32_e32 v103, 16, v48
	v_add_f16_e32 v106, v47, v89
	s_delay_alu instid0(VALU_DEP_2) | instskip(SKIP_1) | instid1(VALU_DEP_1)
	v_fmac_f16_e32 v104, v103, v42
	v_mul_f16_e64 v103, v103, v243
	v_fma_f16 v48, v48, v42, -v103
	s_delay_alu instid0(VALU_DEP_1) | instskip(SKIP_4) | instid1(VALU_DEP_4)
	v_add_f16_e32 v103, v48, v86
	v_sub_f16_e32 v48, v86, v48
	v_add_f16_e32 v86, v104, v87
	v_sub_f16_e32 v87, v87, v104
	;; [unrolled: 2-line block ×3, first 2 shown]
	s_delay_alu instid0(VALU_DEP_4) | instskip(SKIP_1) | instid1(VALU_DEP_4)
	v_add_f16_e32 v106, v86, v106
	v_sub_f16_e32 v107, v89, v86
	v_add_f16_e32 v104, v103, v104
	v_sub_f16_e32 v115, v87, v51
	v_sub_f16_e32 v86, v86, v47
	v_add_f16_e32 v105, v105, v106
	v_add_f16_e32 v108, v48, v44
	;; [unrolled: 1-line block ×3, first 2 shown]
	v_sub_f16_e32 v48, v52, v48
	v_add_f16_e32 v114, v87, v51
	v_fmamk_f16 v106, v106, 0xbcab, v105
	v_sub_f16_e32 v87, v85, v87
	v_fmamk_f16 v104, v104, 0xbcab, v55
	v_pack_b32_f16 v55, v55, v105
	v_sub_f16_e32 v105, v54, v103
	v_sub_f16_e32 v103, v103, v88
	v_mul_f16_e32 v112, 0xb846, v112
	v_mul_f16_e32 v107, 0x3a52, v107
	;; [unrolled: 1-line block ×4, first 2 shown]
	v_add_f16_e32 v108, v108, v52
	v_add_f16_e32 v114, v114, v85
	v_fmamk_f16 v117, v48, 0x3574, v112
	v_fmamk_f16 v120, v87, 0x3574, v115
	v_fmamk_f16 v121, v103, 0x2b26, v105
	v_fmamk_f16 v123, v86, 0x2b26, v107
	v_sub_f16_e32 v44, v44, v52
	v_fmac_f16_e32 v117, 0x370e, v108
	v_fmac_f16_e32 v120, 0x370e, v114
	v_add_f16_e32 v121, v121, v104
	v_add_f16_e32 v123, v123, v106
	v_sub_f16_e32 v51, v51, v85
	v_sub_f16_e32 v47, v47, v89
	v_mul_f16_e32 v52, 0x2b26, v103
	v_add_f16_e32 v126, v120, v121
	v_sub_f16_e32 v127, v123, v117
	s_delay_alu instid0(VALU_DEP_1)
	v_pack_b32_f16 v126, v126, v127
	ds_store_b32 v213, v31 offset:1080
	ds_store_2addr_b32 v222, v55, v126 offset1:45
	v_sub_f16_e32 v31, v88, v54
	v_fma_f16 v54, v44, 0x3b00, -v112
	v_mul_f16_e32 v44, 0x3b00, v44
	v_mul_f16_e32 v55, 0x2b26, v86
	s_delay_alu instid0(VALU_DEP_4) | instskip(SKIP_1) | instid1(VALU_DEP_4)
	v_fma_f16 v52, v31, 0x39e0, -v52
	v_fma_f16 v31, v31, 0xb9e0, -v105
	;; [unrolled: 1-line block ×4, first 2 shown]
	v_mul_f16_e32 v51, 0x3b00, v51
	v_fma_f16 v55, v47, 0x39e0, -v55
	v_fma_f16 v47, v47, 0xb9e0, -v107
	v_fmac_f16_e32 v44, 0x370e, v108
	v_add_f16_e32 v31, v31, v104
	v_fma_f16 v51, v87, 0xb574, -v51
	v_fmac_f16_e32 v54, 0x370e, v108
	v_add_f16_e32 v47, v47, v106
	v_fmac_f16_e32 v48, 0x370e, v114
	v_add_f16_e32 v52, v52, v104
	;; [unrolled: 2-line block ×3, first 2 shown]
	v_sub_f16_e32 v86, v47, v44
	v_add_f16_e32 v44, v44, v47
	s_delay_alu instid0(VALU_DEP_4) | instskip(SKIP_2) | instid1(VALU_DEP_3)
	v_add_f16_e32 v85, v51, v31
	v_sub_f16_e32 v31, v31, v51
	v_add_f16_e32 v87, v54, v55
	v_pack_b32_f16 v85, v85, v86
	v_sub_f16_e32 v86, v52, v48
	v_add_f16_e32 v48, v48, v52
	v_sub_f16_e32 v52, v55, v54
	v_pack_b32_f16 v31, v31, v44
	v_lshrrev_b32_e32 v54, 16, v46
	v_pack_b32_f16 v86, v86, v87
	v_add_f16_e32 v87, v117, v123
	v_pack_b32_f16 v47, v48, v52
	v_lshrrev_b32_e32 v48, 16, v50
	v_lshrrev_b32_e32 v52, 16, v49
	ds_store_2addr_b32 v222, v85, v86 offset0:90 offset1:135
	v_lshrrev_b32_e32 v85, 16, v45
	ds_store_2addr_b32 v222, v47, v31 offset0:180 offset1:225
	v_and_b32_e32 v31, 0xffff, v142
	v_mul_f16_e64 v47, v53, v249
	v_mul_f16_e64 v51, v48, v247
	v_mul_f16_e64 v86, v85, v245
	v_mul_f16_e64 v55, v54, v244
	v_mul_u32_u24_e32 v31, 0x13b, v31
	s_delay_alu instid0(VALU_DEP_4) | instskip(SKIP_2) | instid1(VALU_DEP_4)
	v_fma_f16 v51, v50, v37, -v51
	v_mul_f16_e64 v50, v50, v247
	v_fma_f16 v86, v45, v81, -v86
	v_add_lshl_u32 v223, v31, v146, 2
	v_lshrrev_b32_e32 v31, 16, v53
	v_mul_f16_e64 v45, v45, v245
	v_fmac_f16_e32 v50, v48, v37
	v_fma_f16 v55, v46, v39, -v55
	v_mul_f16_e64 v46, v46, v244
	v_mul_f16_e64 v44, v31, v249
	v_fmac_f16_e32 v47, v31, v36
	v_lshrrev_b32_e32 v31, 16, v102
	v_fmac_f16_e32 v45, v85, v81
	v_fmac_f16_e32 v46, v54, v39
	v_fma_f16 v44, v53, v36, -v44
	v_mul_f16_e64 v53, v52, v248
	v_mul_f16_e64 v48, v31, v246
	v_add_f16_e32 v54, v50, v45
	v_sub_f16_e32 v45, v50, v45
	v_lshrrev_b32_e32 v85, 16, v30
	v_fma_f16 v53, v49, v38, -v53
	v_mul_f16_e64 v49, v49, v248
	v_fma_f16 v48, v102, v82, -v48
	s_delay_alu instid0(VALU_DEP_3) | instskip(NEXT) | instid1(VALU_DEP_3)
	v_add_f16_e32 v50, v53, v55
	v_fmac_f16_e32 v49, v52, v38
	v_mul_f16_e64 v52, v102, v246
	v_sub_f16_e32 v53, v55, v53
	s_delay_alu instid0(VALU_DEP_3) | instskip(NEXT) | instid1(VALU_DEP_3)
	v_add_f16_e32 v55, v49, v46
	v_fmac_f16_e32 v52, v31, v82
	v_add_f16_e32 v31, v44, v48
	v_sub_f16_e32 v44, v44, v48
	v_sub_f16_e32 v46, v46, v49
	s_delay_alu instid0(VALU_DEP_4)
	v_add_f16_e32 v48, v47, v52
	v_sub_f16_e32 v47, v47, v52
	v_add_f16_e32 v52, v51, v86
	v_sub_f16_e32 v51, v51, v86
	v_sub_f16_e32 v86, v121, v120
	v_add_f16_e32 v88, v54, v48
	v_sub_f16_e32 v104, v46, v45
	v_add_f16_e32 v49, v52, v31
	;; [unrolled: 2-line block ×3, first 2 shown]
	v_add_f16_e32 v88, v55, v88
	v_sub_f16_e32 v53, v44, v53
	v_add_f16_e32 v49, v50, v49
	v_add_f16_e32 v103, v46, v45
	v_sub_f16_e32 v46, v47, v46
	v_add_f16_e32 v85, v85, v88
	v_mul_f16_e32 v102, 0xb846, v102
	v_add_f16_e32 v30, v30, v49
	v_mul_f16_e32 v104, 0xb846, v104
	v_add_f16_e32 v89, v89, v44
	v_fmamk_f16 v88, v88, 0xbcab, v85
	v_add_f16_e32 v103, v103, v47
	v_fmamk_f16 v49, v49, 0xbcab, v30
	v_pack_b32_f16 v30, v30, v85
	v_pack_b32_f16 v85, v86, v87
	v_sub_f16_e32 v86, v31, v50
	v_sub_f16_e32 v87, v48, v55
	;; [unrolled: 1-line block ×4, first 2 shown]
	v_fmamk_f16 v105, v53, 0x3574, v102
	v_mul_f16_e32 v86, 0x3a52, v86
	v_mul_f16_e32 v87, 0x3a52, v87
	v_fmamk_f16 v106, v46, 0x3574, v104
	v_sub_f16_e32 v45, v45, v47
	v_fmac_f16_e32 v105, 0x370e, v89
	v_fmamk_f16 v107, v50, 0x2b26, v86
	v_fmamk_f16 v108, v55, 0x2b26, v87
	v_fmac_f16_e32 v106, 0x370e, v103
	v_sub_f16_e32 v44, v51, v44
	v_mul_f16_e32 v47, 0x2b26, v50
	v_add_f16_e32 v107, v107, v49
	v_add_f16_e32 v108, v108, v88
	v_fma_f16 v50, v45, 0x3b00, -v104
	v_mul_f16_e32 v45, 0x3b00, v45
	s_delay_alu instid0(VALU_DEP_4) | instskip(NEXT) | instid1(VALU_DEP_4)
	v_add_f16_e32 v112, v106, v107
	v_sub_f16_e32 v114, v108, v105
	s_delay_alu instid0(VALU_DEP_4) | instskip(NEXT) | instid1(VALU_DEP_4)
	v_fmac_f16_e32 v50, 0x370e, v103
	v_fma_f16 v45, v46, 0xb574, -v45
	v_mul_f16_e32 v46, 0x2b26, v55
	s_delay_alu instid0(VALU_DEP_4)
	v_pack_b32_f16 v112, v112, v114
	ds_store_b32 v222, v85 offset:1080
	ds_store_2addr_b32 v223, v30, v112 offset1:45
	v_sub_f16_e32 v30, v52, v31
	v_sub_f16_e32 v31, v54, v48
	v_fma_f16 v48, v44, 0x3b00, -v102
	v_mul_f16_e32 v44, 0x3b00, v44
	v_fmac_f16_e32 v45, 0x370e, v103
	v_fma_f16 v47, v30, 0x39e0, -v47
	v_fma_f16 v30, v30, 0xb9e0, -v86
	;; [unrolled: 1-line block ×5, first 2 shown]
	v_fmac_f16_e32 v48, 0x370e, v89
	v_add_f16_e32 v30, v30, v49
	v_add_f16_e32 v47, v47, v49
	v_fmac_f16_e32 v44, 0x370e, v89
	v_add_f16_e32 v31, v31, v88
	v_add_f16_e32 v46, v46, v88
	;; [unrolled: 1-line block ×3, first 2 shown]
	v_sub_f16_e32 v30, v30, v45
	v_lshrrev_b32_e32 v45, 16, v22
	v_sub_f16_e32 v51, v31, v44
	v_add_f16_e32 v52, v48, v46
	v_sub_f16_e32 v46, v46, v48
	v_add_f16_e32 v31, v44, v31
	s_delay_alu instid0(VALU_DEP_4) | instskip(SKIP_2) | instid1(VALU_DEP_4)
	v_pack_b32_f16 v49, v49, v51
	v_sub_f16_e32 v51, v47, v50
	v_add_f16_e32 v47, v50, v47
	v_pack_b32_f16 v30, v30, v31
	v_mul_f16_e32 v31, v98, v45
	v_sub_f16_e32 v50, v107, v106
	v_pack_b32_f16 v51, v51, v52
	v_pack_b32_f16 v44, v47, v46
	v_lshrrev_b32_e32 v47, 16, v77
	v_fma_f16 v31, v27, v22, -v31
	v_mul_f16_e32 v27, v27, v45
	v_lshrrev_b32_e32 v46, 16, v23
	ds_store_2addr_b32 v223, v44, v30 offset0:180 offset1:225
	v_lshrrev_b32_e32 v44, 16, v21
	v_mul_f16_e32 v45, v94, v47
	ds_store_2addr_b32 v223, v49, v51 offset0:90 offset1:135
	v_lshrrev_b32_e32 v49, 16, v20
	v_fmac_f16_e32 v27, v98, v22
	v_mul_f16_e32 v30, v97, v44
	v_fma_f16 v45, v25, v77, -v45
	v_mul_f16_e32 v25, v25, v47
	v_lshrrev_b32_e32 v47, 16, v78
	v_mul_f16_e32 v48, v29, v49
	v_fma_f16 v30, v26, v21, -v30
	v_mul_f16_e32 v26, v26, v44
	v_mul_f16_e32 v44, v95, v46
	;; [unrolled: 1-line block ×3, first 2 shown]
	v_fmac_f16_e32 v48, v99, v20
	v_fmac_f16_e32 v25, v94, v77
	;; [unrolled: 1-line block ×3, first 2 shown]
	v_fma_f16 v44, v24, v23, -v44
	v_mul_f16_e32 v24, v24, v46
	v_mul_f16_e32 v46, v101, v47
	;; [unrolled: 1-line block ×3, first 2 shown]
	v_fma_f16 v29, v29, v20, -v49
	v_add_f16_e32 v51, v105, v108
	v_fmac_f16_e32 v24, v95, v23
	v_fma_f16 v46, v100, v78, -v46
	v_fmac_f16_e32 v47, v101, v78
	s_delay_alu instid0(VALU_DEP_4) | instskip(NEXT) | instid1(VALU_DEP_3)
	v_pack_b32_f16 v50, v50, v51
	v_add_f16_e32 v49, v29, v46
	v_sub_f16_e32 v29, v29, v46
	s_delay_alu instid0(VALU_DEP_4)
	v_add_f16_e32 v46, v48, v47
	v_sub_f16_e32 v47, v48, v47
	v_add_f16_e32 v48, v30, v45
	v_sub_f16_e32 v30, v30, v45
	;; [unrolled: 2-line block ×6, first 2 shown]
	v_sub_f16_e32 v49, v49, v26
	v_sub_f16_e32 v48, v26, v48
	;; [unrolled: 1-line block ×3, first 2 shown]
	v_add_f16_e32 v53, v26, v27
	v_add_f16_e32 v26, v45, v46
	v_sub_f16_e32 v27, v45, v46
	v_sub_f16_e32 v46, v46, v44
	v_sub_f16_e32 v45, v44, v45
	v_sub_f16_e32 v85, v47, v24
	v_add_f16_e32 v54, v44, v26
	v_add_f16_e32 v26, v31, v30
	v_sub_f16_e32 v44, v31, v30
	v_sub_f16_e32 v31, v29, v31
	;; [unrolled: 1-line block ×3, first 2 shown]
	ds_store_b32 v223, v50 offset:1080
	v_add_f16_e32 v55, v26, v29
	v_add_f16_e32 v26, v24, v25
	v_sub_f16_e32 v29, v24, v25
	v_mul_f16_e32 v25, 0x3a52, v49
	v_add_f16_e32 v24, v28, v53
	s_delay_alu instid0(VALU_DEP_4) | instskip(SKIP_1) | instid1(VALU_DEP_4)
	v_add_f16_e32 v87, v26, v47
	v_mul_f16_e32 v26, 0x2b26, v48
	v_fmamk_f16 v47, v48, 0x2b26, v25
	v_fma_f16 v49, v52, 0xb9e0, -v25
	v_mul_f16_e32 v25, 0x3a52, v46
	v_mul_f16_e32 v29, 0xb846, v29
	v_fma_f16 v48, v52, 0x39e0, -v26
	v_mul_f16_e32 v26, 0x2b26, v45
	s_delay_alu instid0(VALU_DEP_4) | instskip(SKIP_2) | instid1(VALU_DEP_4)
	v_fmamk_f16 v52, v45, 0x2b26, v25
	v_fma_f16 v89, v27, 0xb9e0, -v25
	v_mul_f16_e32 v25, 0xb846, v44
	v_fma_f16 v88, v27, 0x39e0, -v26
	v_mul_f16_e32 v26, 0x3b00, v30
	v_fmamk_f16 v44, v53, 0xbcab, v24
	s_delay_alu instid0(VALU_DEP_4) | instskip(SKIP_1) | instid1(VALU_DEP_4)
	v_fma_f16 v27, v30, 0x3b00, -v25
	v_fmamk_f16 v25, v31, 0x3574, v25
	v_fma_f16 v28, v31, 0xb574, -v26
	v_mul_f16_e32 v31, 0x3b00, v86
	v_fma_f16 v26, v86, 0x3b00, -v29
	v_fmamk_f16 v30, v85, 0x3574, v29
	v_add_f16_e32 v45, v47, v44
	v_add_f16_e32 v46, v49, v44
	v_fma_f16 v29, v85, 0xb574, -v31
	v_add_f16_e32 v31, v48, v44
	v_add_f16_e32 v44, v96, v54
	v_fmac_f16_e32 v25, 0x370e, v55
	v_fmac_f16_e32 v27, 0x370e, v55
	;; [unrolled: 1-line block ×4, first 2 shown]
	v_fmamk_f16 v48, v54, 0xbcab, v44
	v_fmac_f16_e32 v29, 0x370e, v87
	v_fmac_f16_e32 v30, 0x370e, v87
	s_delay_alu instid0(VALU_DEP_4) | instskip(NEXT) | instid1(VALU_DEP_4)
	v_add_f16_e64 v139, v26, v31
	v_add_f16_e32 v47, v52, v48
	v_add_f16_e32 v49, v88, v48
	;; [unrolled: 1-line block ×3, first 2 shown]
	v_sub_f16_e64 v142, v46, v29
	v_sub_f16_e64 v237, v45, v30
	v_add_f16_e64 v239, v25, v47
	v_sub_f16_e64 v145, v49, v27
	v_add_f16_e64 v138, v28, v48
	s_and_saveexec_b32 s1, s0
	s_cbranch_execz .LBB0_15
; %bb.14:
	v_add_f16_e32 v30, v30, v45
	scratch_load_b32 v45, off, off offset:68 ; 4-byte Folded Reload
	v_sub_f16_e32 v25, v47, v25
	v_add_f16_e32 v27, v27, v49
	v_sub_f16_e32 v28, v48, v28
	v_add_f16_e32 v29, v29, v46
	v_sub_f16_e32 v26, v31, v26
	v_perm_b32 v24, v44, v24, 0x5040100
	v_pack_b32_f16 v25, v30, v25
	v_perm_b32 v31, v138, v142, 0x5040100
	v_pack_b32_f16 v28, v29, v28
	v_pack_b32_f16 v26, v26, v27
	v_perm_b32 v29, v145, v139, 0x5040100
	v_perm_b32 v44, v239, v237, 0x5040100
	s_wait_loadcnt 0x0
	v_lshlrev_b32_e32 v45, 2, v45
	s_delay_alu instid0(VALU_DEP_1)
	v_add_nc_u32_e32 v30, 0x1200, v45
	v_add_nc_u32_e32 v27, 0x1400, v45
	ds_store_2addr_b32 v30, v24, v25 offset0:108 offset1:153
	ds_store_2addr_b32 v27, v28, v26 offset0:70 offset1:115
	;; [unrolled: 1-line block ×3, first 2 shown]
	ds_store_b32 v45, v44 offset:6120
.LBB0_15:
	s_wait_alu 0xfffe
	s_or_b32 exec_lo, exec_lo, s1
	v_lshlrev_b32_e32 v24, 4, v150
	v_lshlrev_b32_e32 v28, 4, v93
	global_wb scope:SCOPE_SE
	s_wait_dscnt 0x0
	s_barrier_signal -1
	s_barrier_wait -1
	global_inv scope:SCOPE_SE
	s_clause 0x1
	global_load_b128 v[24:27], v24, s[2:3] offset:1248
	global_load_b128 v[28:31], v28, s[2:3] offset:1248
	v_add_nc_u32_e32 v89, 0x800, v109
	v_add_nc_u32_e32 v94, 0x1200, v109
	;; [unrolled: 1-line block ×3, first 2 shown]
	ds_load_2addr_b32 v[49:50], v89 offset0:118 offset1:181
	ds_load_2addr_b32 v[85:86], v94 offset0:108 offset1:171
	;; [unrolled: 1-line block ×3, first 2 shown]
	v_add_nc_u32_e32 v146, 0x400, v109
	ds_load_2addr_b32 v[44:45], v109 offset1:63
	ds_load_2addr_b32 v[53:54], v146 offset0:122 offset1:185
	v_add_nc_u32_e32 v148, 0xc00, v109
	s_wait_dscnt 0x4
	v_lshrrev_b32_e32 v87, 16, v49
	s_wait_dscnt 0x3
	v_lshrrev_b32_e32 v88, 16, v85
	v_lshrrev_b32_e32 v95, 16, v50
	s_wait_dscnt 0x2
	v_lshrrev_b32_e32 v97, 16, v51
	v_lshrrev_b32_e32 v96, 16, v86
	s_wait_loadcnt 0x1
	v_lshrrev_b32_e32 v255, 16, v25
	s_wait_loadcnt 0x0
	v_lshrrev_b32_e32 v252, 16, v29
	v_lshrrev_b32_e32 v253, 16, v27
	;; [unrolled: 1-line block ×4, first 2 shown]
	v_mul_f16_e64 v46, v87, v255
	v_mul_f16_e64 v48, v95, v252
	;; [unrolled: 1-line block ×5, first 2 shown]
	v_fma_f16 v49, v49, v25, -v46
	v_fma_f16 v98, v50, v29, -v48
	v_mul_f16_e64 v46, v85, v253
	v_fma_f16 v48, v85, v27, -v99
	v_lshrrev_b32_e32 v254, 16, v28
	v_mul_f16_e64 v50, v97, v251
	s_wait_dscnt 0x0
	v_lshrrev_b32_e32 v85, 16, v53
	v_mul_f16_e64 v100, v96, v250
	v_mul_f16_e64 v99, v86, v250
	;; [unrolled: 1-line block ×3, first 2 shown]
	v_fma_f16 v103, v51, v30, -v50
	v_mul_f16_e64 v50, v85, v254
	v_fma_f16 v100, v86, v31, -v100
	v_mul_f16_e64 v101, v51, v251
	v_fmac_f16_e32 v55, v95, v29
	v_add_f16_e32 v51, v98, v103
	v_fma_f16 v53, v53, v28, -v50
	v_fmac_f16_e32 v99, v96, v31
	v_fmac_f16_e32 v101, v97, v30
	;; [unrolled: 1-line block ×3, first 2 shown]
	v_fma_f16 v104, -0.5, v51, v45
	v_add_f16_e32 v50, v53, v100
	v_lshrrev_b32_e32 v51, 16, v45
	v_add_f16_e32 v96, v45, v53
	v_sub_f16_e32 v85, v103, v100
	v_add_nc_u32_e32 v95, 0x200, v109
	v_fmac_f16_e32 v45, -0.5, v50
	v_sub_f16_e32 v50, v98, v53
	v_add_f16_e32 v97, v51, v102
	v_fmac_f16_e32 v47, v87, v25
	v_fmac_f16_e32 v46, v88, v27
	ds_load_2addr_b32 v[87:88], v148 offset0:114 offset1:177
	v_add_f16_e32 v107, v50, v85
	v_add_f16_e32 v50, v55, v101
	v_sub_f16_e32 v85, v101, v99
	v_lshrrev_b32_e32 v112, 16, v24
	v_lshrrev_b32_e32 v172, 16, v26
	v_sub_f16_e64 v129, v98, v103
	v_fma_f16 v105, -0.5, v50, v51
	v_add_f16_e32 v50, v102, v99
	v_sub_f16_e64 v132, v102, v99
	v_sub_f16_e64 v152, v53, v100
	v_sub_f16_e32 v53, v53, v98
	s_delay_alu instid0(VALU_DEP_4) | instskip(SKIP_1) | instid1(VALU_DEP_2)
	v_fmac_f16_e32 v51, -0.5, v50
	v_sub_f16_e32 v50, v55, v102
	v_fma_f16 v135, 0x3b9c, v129, v51
	s_delay_alu instid0(VALU_DEP_2)
	v_add_f16_e32 v108, v50, v85
	ds_load_2addr_b32 v[85:86], v95 offset0:124 offset1:187
	s_wait_dscnt 0x1
	v_lshrrev_b32_e32 v106, 16, v88
	v_mul_f16_e64 v115, v88, v172
	v_fmac_f16_e64 v51, 0xbb9c, v129
	v_fmac_f16_e64 v135, 0xb8b4, v152
	s_delay_alu instid0(VALU_DEP_3) | instskip(SKIP_1) | instid1(VALU_DEP_4)
	v_fmac_f16_e32 v115, v106, v26
	v_mul_f16_e64 v106, v106, v172
	v_fmac_f16_e64 v51, 0x38b4, v152
	s_delay_alu instid0(VALU_DEP_4) | instskip(NEXT) | instid1(VALU_DEP_4)
	v_fmac_f16_e64 v135, 0x34f2, v108
	v_sub_f16_e32 v123, v46, v115
	v_sub_f16_e64 v157, v115, v46
	s_delay_alu instid0(VALU_DEP_4) | instskip(SKIP_3) | instid1(VALU_DEP_1)
	v_fmac_f16_e32 v51, 0x34f2, v108
	s_wait_dscnt 0x0
	v_lshrrev_b32_e32 v50, 16, v86
	v_mul_f16_e32 v114, v86, v112
	v_fmac_f16_e32 v114, v50, v24
	v_mul_f16_e32 v50, v50, v112
	s_delay_alu instid0(VALU_DEP_2) | instskip(NEXT) | instid1(VALU_DEP_2)
	v_add_f16_e32 v126, v114, v46
	v_fma_f16 v50, v86, v24, -v50
	v_fma_f16 v86, v88, v26, -v106
	v_sub_f16_e32 v106, v55, v101
	s_delay_alu instid0(VALU_DEP_3) | instskip(NEXT) | instid1(VALU_DEP_3)
	v_add_f16_e32 v117, v50, v48
	v_add_f16_e32 v88, v49, v86
	s_delay_alu instid0(VALU_DEP_3)
	v_fma_f16 v133, 0xbb9c, v106, v45
	v_fmac_f16_e32 v45, 0x3b9c, v106
	v_sub_f16_e32 v120, v48, v86
	v_fma_f16 v117, -0.5, v117, v44
	v_fma_f16 v88, -0.5, v88, v44
	v_sub_f16_e32 v121, v86, v48
	v_fmac_f16_e64 v45, 0xb8b4, v132
	v_fmac_f16_e64 v133, 0x38b4, v132
	s_delay_alu instid0(VALU_DEP_2) | instskip(NEXT) | instid1(VALU_DEP_2)
	v_fmac_f16_e32 v45, 0x34f2, v107
	v_fmac_f16_e64 v133, 0x34f2, v107
	s_delay_alu instid0(VALU_DEP_2) | instskip(SKIP_3) | instid1(VALU_DEP_3)
	v_pack_b32_f16 v153, v45, v51
	v_lshrrev_b32_e32 v45, 16, v44
	v_add_f16_e32 v44, v44, v50
	v_sub_f16_e32 v51, v50, v49
	v_add_f16_e32 v127, v45, v114
	s_delay_alu instid0(VALU_DEP_3) | instskip(NEXT) | instid1(VALU_DEP_3)
	v_add_f16_e32 v44, v44, v49
	v_add_f16_e32 v51, v51, v120
	v_sub_f16_e32 v120, v49, v50
	v_sub_f16_e32 v49, v49, v86
	;; [unrolled: 1-line block ×3, first 2 shown]
	v_add_f16_e32 v44, v44, v86
	v_add_f16_e32 v86, v127, v47
	v_add_f16_e32 v120, v120, v121
	v_sub_f16_e32 v121, v114, v47
	s_delay_alu instid0(VALU_DEP_4) | instskip(SKIP_2) | instid1(VALU_DEP_4)
	v_add_f16_e32 v44, v44, v48
	v_sub_f16_e32 v48, v114, v46
	v_add_f16_e32 v86, v86, v115
	v_add_f16_e32 v121, v121, v123
	;; [unrolled: 1-line block ×3, first 2 shown]
	s_delay_alu instid0(VALU_DEP_3) | instskip(SKIP_1) | instid1(VALU_DEP_3)
	v_add_f16_e32 v46, v86, v46
	v_add_nc_u32_e32 v86, 0x1400, v109
	v_fma_f16 v123, -0.5, v123, v45
	v_fmac_f16_e32 v45, -0.5, v126
	v_sub_f16_e32 v126, v47, v114
	v_sub_f16_e32 v47, v47, v115
	v_fmamk_f16 v114, v48, 0x3b9c, v88
	v_fmac_f16_e32 v88, 0xbb9c, v48
	v_pack_b32_f16 v44, v44, v46
	v_add_f16_e32 v46, v96, v98
	v_fmamk_f16 v115, v47, 0xbb9c, v117
	v_fmac_f16_e32 v117, 0x3b9c, v47
	v_fmac_f16_e32 v114, 0x38b4, v47
	v_fmac_f16_e32 v88, 0xb8b4, v47
	v_fmamk_f16 v47, v50, 0xbb9c, v123
	v_fmac_f16_e32 v123, 0x3b9c, v50
	v_fmac_f16_e32 v115, 0x38b4, v48
	v_fmac_f16_e32 v117, 0xb8b4, v48
	;; [unrolled: 4-line block ×3, first 2 shown]
	v_add_f16_e32 v49, v97, v55
	v_add_f16_e64 v126, v126, v157
	v_fmac_f16_e32 v48, 0xb8b4, v50
	v_add_f16_e32 v46, v46, v103
	v_fmac_f16_e32 v45, 0x38b4, v50
	v_add_f16_e32 v49, v49, v101
	v_fmac_f16_e32 v114, 0x34f2, v51
	v_fmac_f16_e32 v47, 0x34f2, v121
	;; [unrolled: 1-line block ×4, first 2 shown]
	v_add_f16_e32 v46, v46, v100
	v_add_f16_e32 v49, v49, v99
	v_fmac_f16_e32 v117, 0x34f2, v120
	v_fmac_f16_e32 v45, 0x34f2, v126
	;; [unrolled: 1-line block ×4, first 2 shown]
	v_pack_b32_f16 v47, v114, v47
	v_pack_b32_f16 v46, v46, v49
	;; [unrolled: 1-line block ×3, first 2 shown]
	v_add_nc_u32_e32 v97, 0xa00, v109
	v_pack_b32_f16 v45, v117, v45
	v_pack_b32_f16 v49, v88, v123
	v_add_nc_u32_e32 v96, 0x600, v109
	v_add_nc_u32_e32 v88, 0x1000, v109
	ds_load_2addr_b32 v[157:158], v109 offset0:126 offset1:189
	ds_load_2addr_b32 v[126:127], v97 offset0:116 offset1:179
	;; [unrolled: 1-line block ×5, first 2 shown]
	ds_store_b32 v109, v47 offset:1260
	ds_store_b32 v109, v48 offset:2520
	;; [unrolled: 1-line block ×4, first 2 shown]
	ds_load_b32 v155, v109 offset:6048
	ds_store_2addr_b32 v109, v44, v46 offset1:63
	v_lshlrev_b32_e32 v44, 4, v92
	v_lshlrev_b32_e32 v45, 4, v91
	s_clause 0x1
	global_load_b128 v[48:51], v44, s[2:3] offset:1248
	global_load_b128 v[44:47], v45, s[2:3] offset:1248
	v_lshrrev_b32_e32 v117, 16, v52
	v_lshrrev_b32_e32 v91, 16, v54
	v_sub_f16_e32 v98, v100, v103
	v_sub_f16_e32 v55, v102, v55
	;; [unrolled: 1-line block ×3, first 2 shown]
	v_fma_f16 v121, 0xbb9c, v152, v105
	s_wait_dscnt 0xa
	v_lshrrev_b32_e32 v165, 16, v157
	v_add_f16_e32 v53, v53, v98
	v_lshrrev_b32_e32 v225, 16, v158
	v_add_f16_e32 v55, v55, v99
	s_wait_dscnt 0x8
	v_lshrrev_b32_e32 v99, 16, v159
	v_fmac_f16_e64 v121, 0xb8b4, v129
	s_wait_dscnt 0x7
	v_lshrrev_b32_e32 v176, 16, v161
	v_fmac_f16_e64 v105, 0x3b9c, v152
	s_delay_alu instid0(VALU_DEP_3) | instskip(NEXT) | instid1(VALU_DEP_2)
	v_fmac_f16_e32 v121, 0x34f2, v55
	v_fmac_f16_e64 v105, 0x38b4, v129
	s_delay_alu instid0(VALU_DEP_1) | instskip(SKIP_3) | instid1(VALU_DEP_2)
	v_fmac_f16_e32 v105, 0x34f2, v55
	s_wait_loadcnt 0x1
	v_lshrrev_b32_e32 v114, 16, v50
	v_lshrrev_b32_e32 v115, 16, v48
	v_mul_f16_e32 v120, v117, v114
	s_delay_alu instid0(VALU_DEP_2) | instskip(NEXT) | instid1(VALU_DEP_2)
	v_mul_f16_e32 v92, v91, v115
	v_fma_f16 v208, v52, v50, -v120
	v_mul_f16_e32 v52, v52, v114
	s_delay_alu instid0(VALU_DEP_3) | instskip(SKIP_2) | instid1(VALU_DEP_4)
	v_fma_f16 v92, v54, v48, -v92
	v_mul_f16_e32 v54, v54, v115
	v_lshrrev_b32_e32 v120, 16, v49
	v_fmac_f16_e32 v52, v117, v50
	v_lshrrev_b32_e32 v117, 16, v51
	s_delay_alu instid0(VALU_DEP_4) | instskip(SKIP_2) | instid1(VALU_DEP_4)
	v_fmac_f16_e32 v54, v91, v48
	v_lshrrev_b32_e32 v91, 16, v126
	v_mul_f16_e32 v98, v126, v120
	v_mul_f16_e64 v100, v159, v117
	s_delay_alu instid0(VALU_DEP_4) | instskip(NEXT) | instid1(VALU_DEP_3)
	v_add_f16_e64 v185, v165, v54
	v_fmac_f16_e32 v98, v91, v49
	v_mul_f16_e32 v91, v91, v120
	s_delay_alu instid0(VALU_DEP_4) | instskip(SKIP_1) | instid1(VALU_DEP_4)
	v_fmac_f16_e32 v100, v99, v51
	v_mul_f16_e32 v99, v99, v117
	v_sub_f16_e64 v168, v98, v52
	s_delay_alu instid0(VALU_DEP_4) | instskip(NEXT) | instid1(VALU_DEP_4)
	v_fma_f16 v91, v126, v49, -v91
	v_sub_f16_e32 v103, v100, v52
	s_delay_alu instid0(VALU_DEP_4)
	v_fma_f16 v99, v159, v51, -v99
	v_sub_f16_e64 v167, v54, v100
	v_lshrrev_b32_e32 v126, 16, v160
	v_sub_f16_e32 v101, v92, v91
	v_sub_f16_e64 v170, v91, v208
	v_sub_f16_e64 v102, v99, v208
	;; [unrolled: 1-line block ×3, first 2 shown]
	v_add_f16_e64 v184, v92, v99
	v_sub_f16_e32 v107, v52, v100
	s_delay_alu instid0(VALU_DEP_4) | instskip(SKIP_1) | instid1(VALU_DEP_4)
	v_add_f16_e32 v101, v101, v102
	v_sub_f16_e32 v102, v54, v98
	v_fma_f16 v184, -0.5, v184, v157
	s_delay_alu instid0(VALU_DEP_2) | instskip(SKIP_1) | instid1(VALU_DEP_3)
	v_add_f16_e32 v102, v102, v103
	v_fma_f16 v103, 0x3b9c, v132, v104
	v_fma_f16 v108, 0xbb9c, v168, v184
	v_fmac_f16_e64 v184, 0x3b9c, v168
	v_fmac_f16_e64 v104, 0xbb9c, v132
	s_delay_alu instid0(VALU_DEP_4) | instskip(NEXT) | instid1(VALU_DEP_4)
	v_fmac_f16_e32 v103, 0x38b4, v106
	v_fmac_f16_e64 v108, 0x38b4, v167
	s_delay_alu instid0(VALU_DEP_4) | instskip(NEXT) | instid1(VALU_DEP_4)
	v_fmac_f16_e64 v184, 0xb8b4, v167
	v_fmac_f16_e32 v104, 0xb8b4, v106
	s_delay_alu instid0(VALU_DEP_4) | instskip(NEXT) | instid1(VALU_DEP_2)
	v_fmac_f16_e32 v103, 0x34f2, v53
	v_fmac_f16_e32 v104, 0x34f2, v53
	s_delay_alu instid0(VALU_DEP_2) | instskip(SKIP_1) | instid1(VALU_DEP_3)
	v_pack_b32_f16 v103, v103, v121
	v_add_f16_e64 v121, v91, v208
	v_pack_b32_f16 v53, v104, v105
	v_lshrrev_b32_e32 v104, 16, v85
	s_delay_alu instid0(VALU_DEP_3) | instskip(SKIP_3) | instid1(VALU_DEP_3)
	v_fma_f16 v159, -0.5, v121, v157
	v_add_f16_e32 v121, v98, v52
	v_add_f16_e64 v157, v157, v92
	v_sub_f16_e32 v92, v91, v92
	v_fma_f16 v166, -0.5, v121, v165
	v_fma_f16 v121, 0x3b9c, v167, v159
	v_fmac_f16_e64 v159, 0xbb9c, v167
	s_delay_alu instid0(VALU_DEP_3) | instskip(NEXT) | instid1(VALU_DEP_3)
	v_fma_f16 v123, 0xbb9c, v169, v166
	v_fmac_f16_e64 v121, 0x38b4, v168
	v_fmac_f16_e64 v166, 0x3b9c, v169
	s_delay_alu instid0(VALU_DEP_4) | instskip(NEXT) | instid1(VALU_DEP_4)
	v_fmac_f16_e64 v159, 0xb8b4, v168
	v_fmac_f16_e64 v123, 0xb8b4, v170
	s_delay_alu instid0(VALU_DEP_4) | instskip(NEXT) | instid1(VALU_DEP_4)
	v_fmac_f16_e32 v121, 0x34f2, v101
	v_fmac_f16_e64 v166, 0x38b4, v170
	s_delay_alu instid0(VALU_DEP_4) | instskip(NEXT) | instid1(VALU_DEP_4)
	v_fmac_f16_e64 v159, 0x34f2, v101
	v_fmac_f16_e32 v123, 0x34f2, v102
	s_delay_alu instid0(VALU_DEP_3) | instskip(NEXT) | instid1(VALU_DEP_2)
	v_fmac_f16_e64 v166, 0x34f2, v102
	v_pack_b32_f16 v121, v121, v123
	s_wait_loadcnt 0x0
	v_lshrrev_b32_e32 v123, 16, v45
	ds_store_2addr_b32 v146, v103, v121 offset0:122 offset1:185
	v_lshrrev_b32_e32 v103, 16, v127
	v_mul_f16_e64 v173, v127, v123
	s_delay_alu instid0(VALU_DEP_2) | instskip(NEXT) | instid1(VALU_DEP_2)
	v_mul_f16_e32 v121, v103, v123
	v_fmac_f16_e64 v173, v103, v45
	s_wait_dscnt 0x7
	v_lshrrev_b32_e32 v103, 16, v163
	s_delay_alu instid0(VALU_DEP_3) | instskip(SKIP_1) | instid1(VALU_DEP_1)
	v_fma_f16 v171, v127, v45, -v121
	v_lshrrev_b32_e32 v121, 16, v47
	v_mul_f16_e32 v127, v126, v121
	s_delay_alu instid0(VALU_DEP_1) | instskip(SKIP_2) | instid1(VALU_DEP_2)
	v_fma_f16 v174, v160, v47, -v127
	v_mul_f16_e64 v160, v160, v121
	v_lshrrev_b32_e32 v127, 16, v44
	v_fmac_f16_e64 v160, v126, v47
	v_lshrrev_b32_e32 v126, 16, v46
	s_delay_alu instid0(VALU_DEP_3) | instskip(NEXT) | instid1(VALU_DEP_2)
	v_mul_f16_e64 v224, v161, v127
	v_mul_f16_e64 v175, v163, v126
	s_delay_alu instid0(VALU_DEP_2) | instskip(SKIP_1) | instid1(VALU_DEP_3)
	v_fmac_f16_e64 v224, v176, v44
	v_mul_f16_e64 v176, v176, v127
	v_fmac_f16_e64 v175, v103, v46
	v_mul_f16_e32 v103, v103, v126
	s_delay_alu instid0(VALU_DEP_3)
	v_fma_f16 v161, v161, v44, -v176
	v_add_f16_e64 v178, v224, v160
	v_add_f16_e64 v229, v225, v224
	v_sub_f16_e64 v179, v175, v160
	v_fma_f16 v103, v163, v46, -v103
	v_add_f16_e64 v176, v161, v174
	v_add_f16_e64 v226, v158, v161
	v_sub_f16_e64 v182, v224, v160
	v_sub_f16_e64 v183, v161, v174
	v_add_f16_e64 v163, v171, v103
	v_sub_f16_e64 v227, v103, v174
	v_sub_f16_e64 v180, v171, v103
	s_delay_alu instid0(VALU_DEP_3) | instskip(SKIP_2) | instid1(VALU_DEP_1)
	v_fma_f16 v163, -0.5, v163, v158
	v_fmac_f16_e64 v158, -0.5, v176
	v_sub_f16_e64 v176, v171, v161
	v_add_f16_e64 v176, v176, v227
	v_add_f16_e64 v227, v173, v175
	s_delay_alu instid0(VALU_DEP_1) | instskip(SKIP_2) | instid1(VALU_DEP_2)
	v_fma_f16 v227, -0.5, v227, v225
	v_fmac_f16_e64 v225, -0.5, v178
	v_sub_f16_e64 v178, v173, v224
	v_fma_f16 v181, 0x3b9c, v180, v225
	s_delay_alu instid0(VALU_DEP_2) | instskip(SKIP_2) | instid1(VALU_DEP_4)
	v_add_f16_e64 v178, v178, v179
	v_sub_f16_e64 v179, v173, v175
	v_fmac_f16_e64 v225, 0xbb9c, v180
	v_fmac_f16_e64 v181, 0xb8b4, v183
	s_delay_alu instid0(VALU_DEP_3) | instskip(SKIP_1) | instid1(VALU_DEP_4)
	v_fma_f16 v231, 0xbb9c, v179, v158
	v_fmac_f16_e64 v158, 0x3b9c, v179
	v_fmac_f16_e64 v225, 0x38b4, v183
	s_delay_alu instid0(VALU_DEP_4) | instskip(NEXT) | instid1(VALU_DEP_4)
	v_fmac_f16_e64 v181, 0x34f2, v178
	v_fmac_f16_e64 v231, 0x38b4, v182
	s_delay_alu instid0(VALU_DEP_4) | instskip(NEXT) | instid1(VALU_DEP_4)
	v_fmac_f16_e64 v158, 0xb8b4, v182
	v_fmac_f16_e64 v225, 0x34f2, v178
	s_delay_alu instid0(VALU_DEP_3) | instskip(NEXT) | instid1(VALU_DEP_3)
	v_fmac_f16_e64 v231, 0x34f2, v176
	v_fmac_f16_e64 v158, 0x34f2, v176
	s_delay_alu instid0(VALU_DEP_1) | instskip(SKIP_1) | instid1(VALU_DEP_1)
	v_pack_b32_f16 v158, v158, v225
	v_sub_f16_e64 v225, v208, v99
	v_add_f16_e64 v92, v92, v225
	v_add_f16_e64 v225, v54, v100
	v_sub_f16_e32 v54, v98, v54
	s_delay_alu instid0(VALU_DEP_3) | instskip(NEXT) | instid1(VALU_DEP_3)
	v_fmac_f16_e64 v184, 0x34f2, v92
	v_fmac_f16_e64 v165, -0.5, v225
	s_delay_alu instid0(VALU_DEP_3) | instskip(SKIP_2) | instid1(VALU_DEP_4)
	v_add_f16_e32 v54, v54, v107
	v_pack_b32_f16 v107, v133, v135
	v_fmac_f16_e32 v108, 0x34f2, v92
	v_fma_f16 v133, 0x3b9c, v170, v165
	v_fmac_f16_e64 v165, 0xbb9c, v170
	s_delay_alu instid0(VALU_DEP_2) | instskip(NEXT) | instid1(VALU_DEP_2)
	v_fmac_f16_e64 v133, 0xb8b4, v169
	v_fmac_f16_e64 v165, 0x38b4, v169
	s_delay_alu instid0(VALU_DEP_2) | instskip(NEXT) | instid1(VALU_DEP_2)
	v_fmac_f16_e64 v133, 0x34f2, v54
	v_fmac_f16_e64 v165, 0x34f2, v54
	s_delay_alu instid0(VALU_DEP_2) | instskip(NEXT) | instid1(VALU_DEP_2)
	v_pack_b32_f16 v108, v108, v133
	v_pack_b32_f16 v54, v184, v165
	ds_store_2addr_b32 v89, v107, v108 offset0:181 offset1:244
	ds_store_2addr_b32 v93, v153, v54 offset0:112 offset1:175
	v_pack_b32_f16 v54, v159, v166
	ds_store_2addr_b32 v86, v53, v54 offset0:43 offset1:106
	v_add_f16_e64 v53, v157, v91
	v_add_f16_e64 v54, v185, v98
	v_lshrrev_b32_e32 v98, 16, v87
	s_delay_alu instid0(VALU_DEP_3) | instskip(NEXT) | instid1(VALU_DEP_3)
	v_add_f16_e64 v53, v53, v208
	v_add_f16_e32 v52, v54, v52
	v_add_f16_e64 v54, v229, v173
	s_delay_alu instid0(VALU_DEP_3) | instskip(NEXT) | instid1(VALU_DEP_3)
	v_add_f16_e32 v53, v53, v99
	v_add_f16_e32 v52, v52, v100
	s_delay_alu instid0(VALU_DEP_3) | instskip(SKIP_1) | instid1(VALU_DEP_3)
	v_add_f16_e64 v54, v54, v175
	v_lshrrev_b32_e32 v100, 16, v164
	v_pack_b32_f16 v52, v53, v52
	v_add_f16_e64 v53, v226, v171
	s_delay_alu instid0(VALU_DEP_4) | instskip(SKIP_1) | instid1(VALU_DEP_3)
	v_add_f16_e64 v54, v54, v160
	v_sub_f16_e64 v160, v160, v175
	v_add_f16_e32 v53, v53, v103
	v_sub_f16_e64 v103, v174, v103
	s_delay_alu instid0(VALU_DEP_2) | instskip(NEXT) | instid1(VALU_DEP_1)
	v_add_f16_e64 v53, v53, v174
	v_pack_b32_f16 v53, v53, v54
	ds_store_2addr_b32 v109, v52, v53 offset0:126 offset1:189
	v_lshlrev_b32_e32 v52, 4, v90
	v_lshrrev_b32_e32 v90, 16, v162
	global_load_b128 v[52:55], v52, s[2:3] offset:1248
	s_add_nc_u64 s[2:3], s[12:13], 0x189c
	s_wait_loadcnt 0x0
	v_lshrrev_b32_e32 v133, 16, v52
	v_lshrrev_b32_e32 v135, 16, v53
	v_lshrrev_b32_e32 v132, 16, v54
	v_lshrrev_b32_e32 v129, 16, v55
	s_delay_alu instid0(VALU_DEP_4) | instskip(NEXT) | instid1(VALU_DEP_4)
	v_mul_f16_e64 v92, v162, v133
	v_mul_f16_e64 v99, v98, v135
	v_mul_f16_e64 v91, v90, v133
	v_mul_f16_e64 v101, v100, v132
	v_mul_f16_e64 v102, v164, v132
	v_fmac_f16_e32 v92, v90, v52
	v_fma_f16 v99, v87, v53, -v99
	v_mul_f16_e64 v87, v87, v135
	s_wait_dscnt 0x6
	v_lshrrev_b32_e32 v90, 16, v155
	v_fma_f16 v101, v164, v54, -v101
	v_fmac_f16_e32 v102, v100, v54
	v_mul_f16_e64 v100, v155, v129
	v_fmac_f16_e32 v87, v98, v53
	v_mul_f16_e64 v98, v90, v129
	v_fma_f16 v91, v162, v52, -v91
	v_add_f16_e32 v107, v104, v92
	v_fmac_f16_e32 v100, v90, v55
	v_add_f16_e32 v90, v99, v101
	v_fma_f16 v98, v155, v55, -v98
	v_add_f16_e32 v105, v85, v91
	v_sub_f16_e64 v159, v99, v101
	v_sub_f16_e32 v108, v102, v100
	v_fma_f16 v152, -0.5, v90, v85
	v_add_f16_e32 v90, v91, v98
	v_sub_f16_e32 v106, v101, v98
	v_sub_f16_e64 v157, v92, v100
	v_sub_f16_e64 v164, v91, v98
	s_delay_alu instid0(VALU_DEP_4) | instskip(SKIP_2) | instid1(VALU_DEP_2)
	v_fmac_f16_e32 v85, -0.5, v90
	v_sub_f16_e32 v90, v99, v91
	v_sub_f16_e32 v91, v91, v99
	v_add_f16_e32 v90, v90, v106
	v_add_f16_e32 v106, v87, v102
	s_delay_alu instid0(VALU_DEP_1) | instskip(SKIP_1) | instid1(VALU_DEP_1)
	v_fma_f16 v153, -0.5, v106, v104
	v_add_f16_e32 v106, v92, v100
	v_fmac_f16_e32 v104, -0.5, v106
	v_sub_f16_e32 v106, v87, v92
	s_delay_alu instid0(VALU_DEP_2) | instskip(NEXT) | instid1(VALU_DEP_2)
	v_fma_f16 v162, 0x3b9c, v159, v104
	v_add_f16_e32 v106, v106, v108
	v_sub_f16_e32 v108, v87, v102
	v_fmac_f16_e64 v104, 0xbb9c, v159
	s_delay_alu instid0(VALU_DEP_4) | instskip(NEXT) | instid1(VALU_DEP_3)
	v_fmac_f16_e64 v162, 0xb8b4, v164
	v_fma_f16 v155, 0xbb9c, v108, v85
	v_fmac_f16_e32 v85, 0x3b9c, v108
	s_delay_alu instid0(VALU_DEP_4) | instskip(NEXT) | instid1(VALU_DEP_4)
	v_fmac_f16_e64 v104, 0x38b4, v164
	v_fmac_f16_e64 v162, 0x34f2, v106
	s_delay_alu instid0(VALU_DEP_4) | instskip(NEXT) | instid1(VALU_DEP_4)
	v_fmac_f16_e64 v155, 0x38b4, v157
	v_fmac_f16_e64 v85, 0xb8b4, v157
	s_delay_alu instid0(VALU_DEP_4) | instskip(NEXT) | instid1(VALU_DEP_3)
	v_fmac_f16_e32 v104, 0x34f2, v106
	v_fmac_f16_e64 v155, 0x34f2, v90
	s_delay_alu instid0(VALU_DEP_3) | instskip(NEXT) | instid1(VALU_DEP_2)
	v_fmac_f16_e32 v85, 0x34f2, v90
	v_pack_b32_f16 v90, v155, v162
	s_delay_alu instid0(VALU_DEP_2) | instskip(SKIP_3) | instid1(VALU_DEP_3)
	v_pack_b32_f16 v85, v85, v104
	v_sub_f16_e64 v104, v161, v171
	v_fma_f16 v161, 0x3b9c, v182, v163
	v_fmac_f16_e64 v163, 0xbb9c, v182
	v_add_f16_e32 v103, v104, v103
	s_delay_alu instid0(VALU_DEP_3) | instskip(NEXT) | instid1(VALU_DEP_3)
	v_fmac_f16_e64 v161, 0x38b4, v179
	v_fmac_f16_e64 v163, 0xb8b4, v179
	v_sub_f16_e64 v104, v224, v173
	s_delay_alu instid0(VALU_DEP_3) | instskip(NEXT) | instid1(VALU_DEP_3)
	v_fmac_f16_e64 v161, 0x34f2, v103
	v_fmac_f16_e64 v163, 0x34f2, v103
	v_add_f16_e32 v103, v105, v99
	s_delay_alu instid0(VALU_DEP_4) | instskip(SKIP_2) | instid1(VALU_DEP_4)
	v_add_f16_e64 v104, v104, v160
	v_fma_f16 v160, 0xbb9c, v183, v227
	v_fmac_f16_e64 v227, 0x3b9c, v183
	v_add_f16_e32 v99, v103, v101
	v_sub_f16_e32 v101, v98, v101
	s_delay_alu instid0(VALU_DEP_4) | instskip(NEXT) | instid1(VALU_DEP_4)
	v_fmac_f16_e64 v160, 0xb8b4, v180
	v_fmac_f16_e64 v227, 0x38b4, v180
	s_delay_alu instid0(VALU_DEP_4)
	v_add_f16_e32 v98, v99, v98
	v_add_f16_e32 v99, v107, v87
	v_sub_f16_e32 v87, v92, v87
	v_add_f16_e32 v91, v91, v101
	v_fmac_f16_e64 v227, 0x34f2, v104
	v_fmac_f16_e64 v160, 0x34f2, v104
	v_add_f16_e32 v92, v99, v102
	v_sub_f16_e32 v99, v100, v102
	v_fma_f16 v102, 0xbb9c, v164, v153
	v_fmac_f16_e64 v153, 0x3b9c, v164
	v_pack_b32_f16 v101, v231, v181
	v_add_f16_e32 v92, v92, v100
	v_add_f16_e32 v87, v87, v99
	v_fmac_f16_e64 v102, 0xb8b4, v159
	v_fmac_f16_e64 v153, 0x38b4, v159
	v_pack_b32_f16 v99, v163, v227
	v_pack_b32_f16 v92, v98, v92
	v_fma_f16 v98, 0x3b9c, v157, v152
	v_fmac_f16_e64 v152, 0xbb9c, v157
	v_fmac_f16_e64 v153, 0x34f2, v87
	v_fmac_f16_e32 v102, 0x34f2, v87
	v_pack_b32_f16 v100, v161, v160
	v_fmac_f16_e32 v98, 0x38b4, v108
	v_fmac_f16_e64 v152, 0xb8b4, v108
	s_delay_alu instid0(VALU_DEP_2) | instskip(NEXT) | instid1(VALU_DEP_2)
	v_fmac_f16_e32 v98, 0x34f2, v91
	v_fmac_f16_e64 v152, 0x34f2, v91
	s_delay_alu instid0(VALU_DEP_2) | instskip(NEXT) | instid1(VALU_DEP_2)
	v_pack_b32_f16 v98, v98, v102
	v_pack_b32_f16 v87, v152, v153
	ds_store_b32 v109, v99 offset:5796
	ds_store_b32 v109, v158 offset:4536
	;; [unrolled: 1-line block ×4, first 2 shown]
	ds_store_2addr_b32 v96, v100, v98 offset0:120 offset1:183
	ds_store_b32 v109, v90 offset:3528
	ds_store_b32 v109, v85 offset:4788
	;; [unrolled: 1-line block ×3, first 2 shown]
	global_wb scope:SCOPE_SE
	s_wait_dscnt 0x0
	s_barrier_signal -1
	s_barrier_wait -1
	global_inv scope:SCOPE_SE
	s_clause 0x6
	global_load_b32 v85, v[56:57], off offset:6300
	global_load_b32 v87, v109, s[2:3] offset:252
	global_load_b32 v92, v109, s[2:3] offset:504
	;; [unrolled: 1-line block ×6, first 2 shown]
	ds_load_2addr_b32 v[90:91], v109 offset1:63
	s_wait_dscnt 0x0
	v_lshrrev_b32_e32 v99, 16, v90
	s_wait_loadcnt 0x6
	v_lshrrev_b32_e32 v98, 16, v85
	s_delay_alu instid0(VALU_DEP_1) | instskip(NEXT) | instid1(VALU_DEP_3)
	v_mul_f16_e32 v100, v90, v98
	v_mul_f16_e32 v98, v99, v98
	s_delay_alu instid0(VALU_DEP_2) | instskip(NEXT) | instid1(VALU_DEP_2)
	v_fmac_f16_e32 v100, v99, v85
	v_fma_f16 v85, v90, v85, -v98
	s_delay_alu instid0(VALU_DEP_1)
	v_pack_b32_f16 v85, v85, v100
	ds_store_b32 v109, v85
	s_clause 0x4
	global_load_b32 v85, v109, s[2:3] offset:2856
	global_load_b32 v90, v109, s[2:3] offset:3108
	;; [unrolled: 1-line block ×5, first 2 shown]
	ds_load_2addr_b32 v[98:99], v89 offset0:139 offset1:202
	s_wait_dscnt 0x0
	v_lshrrev_b32_e32 v101, 16, v99
	s_wait_loadcnt 0x4
	v_lshrrev_b32_e32 v100, 16, v85
	s_wait_loadcnt 0x3
	v_lshrrev_b32_e32 v104, 16, v90
	s_delay_alu instid0(VALU_DEP_2) | instskip(SKIP_1) | instid1(VALU_DEP_2)
	v_mul_f16_e32 v102, v99, v100
	v_mul_f16_e32 v103, v101, v100
	v_fmac_f16_e32 v102, v101, v85
	ds_load_2addr_b32 v[100:101], v148 offset0:9 offset1:72
	v_fma_f16 v85, v99, v85, -v103
	s_delay_alu instid0(VALU_DEP_1) | instskip(SKIP_3) | instid1(VALU_DEP_2)
	v_pack_b32_f16 v85, v85, v102
	s_wait_dscnt 0x0
	v_lshrrev_b32_e32 v105, 16, v100
	v_mul_f16_e32 v106, v100, v104
	v_mul_f16_e32 v104, v105, v104
	s_delay_alu instid0(VALU_DEP_2) | instskip(NEXT) | instid1(VALU_DEP_2)
	v_fmac_f16_e32 v106, v105, v90
	v_fma_f16 v90, v100, v90, -v104
	s_delay_alu instid0(VALU_DEP_1)
	v_pack_b32_f16 v90, v90, v106
	ds_store_2addr_b32 v97, v85, v90 offset0:74 offset1:137
	s_clause 0x5
	global_load_b32 v85, v109, s[2:3] offset:4956
	global_load_b32 v90, v109, s[2:3] offset:5208
	;; [unrolled: 1-line block ×6, first 2 shown]
	ds_load_2addr_b32 v[99:100], v88 offset0:152 offset1:215
	s_wait_dscnt 0x0
	v_lshrrev_b32_e32 v102, 16, v100
	s_wait_loadcnt 0x5
	v_lshrrev_b32_e32 v97, 16, v85
	s_wait_loadcnt 0x4
	v_lshrrev_b32_e32 v105, 16, v90
	s_delay_alu instid0(VALU_DEP_2) | instskip(SKIP_1) | instid1(VALU_DEP_2)
	v_mul_f16_e32 v104, v100, v97
	v_mul_f16_e32 v97, v102, v97
	v_fmac_f16_e32 v104, v102, v85
	ds_load_2addr_b32 v[102:103], v86 offset0:22 offset1:85
	v_fma_f16 v85, v100, v85, -v97
	s_delay_alu instid0(VALU_DEP_1) | instskip(SKIP_3) | instid1(VALU_DEP_2)
	v_pack_b32_f16 v85, v85, v104
	s_wait_dscnt 0x0
	v_lshrrev_b32_e32 v106, 16, v102
	v_mul_f16_e32 v107, v102, v105
	v_mul_f16_e32 v105, v106, v105
	s_delay_alu instid0(VALU_DEP_2) | instskip(NEXT) | instid1(VALU_DEP_2)
	v_fmac_f16_e32 v107, v106, v90
	v_fma_f16 v90, v102, v90, -v105
	s_delay_alu instid0(VALU_DEP_1)
	v_pack_b32_f16 v90, v90, v107
	ds_store_2addr_b32 v94, v85, v90 offset0:87 offset1:150
	s_clause 0x1
	global_load_b32 v85, v109, s[2:3] offset:2100
	global_load_b32 v90, v109, s[2:3] offset:2352
	ds_load_2addr_b32 v[104:105], v89 offset0:13 offset1:76
	ds_load_2addr_b32 v[106:107], v146 offset0:122 offset1:185
	s_wait_dscnt 0x1
	v_lshrrev_b32_e32 v97, 16, v104
	s_wait_dscnt 0x0
	v_lshrrev_b32_e32 v108, 16, v107
	s_wait_loadcnt 0x1
	v_lshrrev_b32_e32 v94, 16, v85
	s_delay_alu instid0(VALU_DEP_1) | instskip(SKIP_1) | instid1(VALU_DEP_2)
	v_mul_f16_e32 v100, v104, v94
	v_mul_f16_e32 v94, v97, v94
	v_fmac_f16_e32 v100, v97, v85
	global_load_b32 v97, v109, s[2:3] offset:1764
	v_fma_f16 v85, v104, v85, -v94
	s_delay_alu instid0(VALU_DEP_1) | instskip(SKIP_2) | instid1(VALU_DEP_1)
	v_pack_b32_f16 v85, v85, v100
	s_wait_loadcnt 0x0
	v_lshrrev_b32_e32 v102, 16, v97
	v_mul_f16_e64 v167, v107, v102
	v_mul_f16_e32 v102, v108, v102
	s_delay_alu instid0(VALU_DEP_2) | instskip(NEXT) | instid1(VALU_DEP_2)
	v_fmac_f16_e64 v167, v108, v97
	v_fma_f16 v94, v107, v97, -v102
	s_delay_alu instid0(VALU_DEP_1)
	v_pack_b32_f16 v94, v94, v167
	ds_store_2addr_b32 v96, v94, v85 offset0:57 offset1:141
	s_clause 0x1
	global_load_b32 v85, v109, s[2:3] offset:4200
	global_load_b32 v94, v109, s[2:3] offset:4452
	ds_load_2addr_b32 v[96:97], v88 offset0:26 offset1:89
	ds_load_2addr_b32 v[107:108], v148 offset0:135 offset1:198
	s_wait_dscnt 0x1
	v_lshrrev_b32_e32 v102, 16, v96
	s_wait_dscnt 0x0
	v_lshrrev_b32_e32 v168, 16, v108
	s_wait_loadcnt 0x1
	v_lshrrev_b32_e32 v100, 16, v85
	s_delay_alu instid0(VALU_DEP_1) | instskip(SKIP_1) | instid1(VALU_DEP_2)
	v_mul_f16_e32 v104, v96, v100
	v_mul_f16_e32 v100, v102, v100
	v_fmac_f16_e32 v104, v102, v85
	global_load_b32 v102, v109, s[2:3] offset:3864
	v_fma_f16 v85, v96, v85, -v100
	s_delay_alu instid0(VALU_DEP_1) | instskip(SKIP_2) | instid1(VALU_DEP_1)
	v_pack_b32_f16 v85, v85, v104
	s_wait_loadcnt 0x0
	v_lshrrev_b32_e32 v167, 16, v102
	v_mul_f16_e64 v169, v108, v167
	v_mul_f16_e64 v167, v168, v167
	s_delay_alu instid0(VALU_DEP_2) | instskip(NEXT) | instid1(VALU_DEP_2)
	v_fmac_f16_e64 v169, v168, v102
	v_fma_f16 v96, v108, v102, -v167
	s_delay_alu instid0(VALU_DEP_1) | instskip(SKIP_3) | instid1(VALU_DEP_1)
	v_pack_b32_f16 v96, v96, v169
	ds_store_2addr_b32 v93, v96, v85 offset0:70 offset1:154
	v_lshrrev_b32_e32 v85, 16, v91
	v_lshrrev_b32_e32 v93, 16, v87
	v_mul_f16_e32 v96, v85, v93
	v_mul_f16_e32 v93, v91, v93
	s_delay_alu instid0(VALU_DEP_2) | instskip(NEXT) | instid1(VALU_DEP_2)
	v_fma_f16 v96, v91, v87, -v96
	v_fmac_f16_e32 v93, v85, v87
	v_lshrrev_b32_e32 v85, 16, v90
	v_lshrrev_b32_e32 v87, 16, v105
	s_delay_alu instid0(VALU_DEP_3) | instskip(NEXT) | instid1(VALU_DEP_2)
	v_pack_b32_f16 v93, v96, v93
	v_mul_f16_e32 v91, v87, v85
	v_mul_f16_e32 v85, v105, v85
	s_delay_alu instid0(VALU_DEP_2) | instskip(NEXT) | instid1(VALU_DEP_2)
	v_fma_f16 v100, v105, v90, -v91
	v_fmac_f16_e32 v85, v87, v90
	v_lshrrev_b32_e32 v87, 16, v94
	v_lshrrev_b32_e32 v90, 16, v97
	s_delay_alu instid0(VALU_DEP_3) | instskip(NEXT) | instid1(VALU_DEP_2)
	v_pack_b32_f16 v85, v100, v85
	v_mul_f16_e32 v91, v90, v87
	v_mul_f16_e32 v87, v97, v87
	s_delay_alu instid0(VALU_DEP_2) | instskip(NEXT) | instid1(VALU_DEP_2)
	v_fma_f16 v97, v97, v94, -v91
	v_fmac_f16_e32 v87, v90, v94
	v_lshrrev_b32_e32 v90, 16, v162
	v_lshrrev_b32_e32 v91, 16, v98
	s_delay_alu instid0(VALU_DEP_2) | instskip(NEXT) | instid1(VALU_DEP_2)
	v_mul_f16_e32 v102, v98, v90
	v_mul_f16_e32 v94, v91, v90
	v_lshrrev_b32_e32 v90, 16, v166
	s_delay_alu instid0(VALU_DEP_3) | instskip(SKIP_1) | instid1(VALU_DEP_3)
	v_fmac_f16_e64 v102, v91, v162
	v_lshrrev_b32_e32 v91, 16, v99
	v_mul_f16_e32 v104, v99, v90
	v_fma_f16 v94, v98, v162, -v94
	s_delay_alu instid0(VALU_DEP_3) | instskip(NEXT) | instid1(VALU_DEP_3)
	v_mul_f16_e32 v98, v91, v90
	v_fmac_f16_e64 v104, v91, v166
	ds_load_2addr_b32 v[90:91], v109 offset0:126 offset1:189
	v_fma_f16 v98, v99, v166, -v98
	v_lshrrev_b32_e32 v99, 16, v92
	s_wait_dscnt 0x0
	v_lshrrev_b32_e32 v105, 16, v90
	s_delay_alu instid0(VALU_DEP_2) | instskip(NEXT) | instid1(VALU_DEP_2)
	v_mul_f16_e32 v108, v90, v99
	v_mul_f16_e32 v99, v105, v99
	s_delay_alu instid0(VALU_DEP_2) | instskip(NEXT) | instid1(VALU_DEP_2)
	v_fmac_f16_e32 v108, v105, v92
	v_fma_f16 v92, v90, v92, -v99
	v_lshrrev_b32_e32 v90, 16, v155
	v_lshrrev_b32_e32 v99, 16, v91
	s_delay_alu instid0(VALU_DEP_3) | instskip(NEXT) | instid1(VALU_DEP_3)
	v_pack_b32_f16 v92, v92, v108
	v_mul_f16_e64 v162, v91, v90
	s_delay_alu instid0(VALU_DEP_3)
	v_mul_f16_e32 v105, v99, v90
	ds_store_2addr_b32 v109, v93, v92 offset0:63 offset1:126
	v_fmac_f16_e64 v162, v99, v155
	v_fma_f16 v105, v91, v155, -v105
	ds_load_2addr_b32 v[90:91], v95 offset0:124 offset1:187
	v_lshrrev_b32_e32 v99, 16, v157
	v_pack_b32_f16 v92, v94, v102
	ds_store_2addr_b32 v89, v85, v92 offset0:76 offset1:139
	v_pack_b32_f16 v85, v97, v87
	v_pack_b32_f16 v87, v98, v104
	ds_store_2addr_b32 v88, v85, v87 offset0:89 offset1:152
	v_pack_b32_f16 v85, v105, v162
	s_wait_dscnt 0x2
	v_lshrrev_b32_e32 v155, 16, v90
	v_mul_f16_e64 v166, v90, v99
	s_delay_alu instid0(VALU_DEP_2) | instskip(NEXT) | instid1(VALU_DEP_2)
	v_mul_f16_e64 v99, v155, v99
	v_fmac_f16_e64 v166, v155, v157
	v_lshrrev_b32_e32 v155, 16, v91
	s_delay_alu instid0(VALU_DEP_3) | instskip(SKIP_1) | instid1(VALU_DEP_2)
	v_fma_f16 v99, v90, v157, -v99
	v_lshrrev_b32_e32 v90, 16, v158
	v_pack_b32_f16 v87, v99, v166
	s_delay_alu instid0(VALU_DEP_2)
	v_mul_f16_e64 v157, v155, v90
	v_mul_f16_e64 v167, v91, v90
	v_lshrrev_b32_e32 v90, 16, v160
	ds_store_2addr_b32 v109, v85, v87 offset0:189 offset1:252
	v_fma_f16 v157, v91, v158, -v157
	v_lshrrev_b32_e32 v91, 16, v101
	v_fmac_f16_e64 v167, v155, v158
	v_mul_f16_e64 v158, v101, v90
	s_delay_alu instid0(VALU_DEP_3) | instskip(SKIP_1) | instid1(VALU_DEP_3)
	v_mul_f16_e64 v155, v91, v90
	v_lshrrev_b32_e32 v90, 16, v163
	v_fmac_f16_e64 v158, v91, v160
	v_lshrrev_b32_e32 v91, 16, v103
	v_pack_b32_f16 v85, v157, v167
	v_fma_f16 v101, v101, v160, -v155
	v_mul_f16_e64 v160, v103, v90
	s_delay_alu instid0(VALU_DEP_4) | instskip(SKIP_1) | instid1(VALU_DEP_3)
	v_mul_f16_e64 v155, v91, v90
	v_lshrrev_b32_e32 v90, 16, v159
	v_fmac_f16_e64 v160, v91, v163
	v_lshrrev_b32_e32 v91, 16, v106
	s_delay_alu instid0(VALU_DEP_4) | instskip(NEXT) | instid1(VALU_DEP_4)
	v_fma_f16 v103, v103, v163, -v155
	v_mul_f16_e64 v163, v106, v90
	s_delay_alu instid0(VALU_DEP_3) | instskip(SKIP_1) | instid1(VALU_DEP_3)
	v_mul_f16_e64 v155, v91, v90
	v_lshrrev_b32_e32 v90, 16, v161
	v_fmac_f16_e64 v163, v91, v159
	v_lshrrev_b32_e32 v91, 16, v107
	s_delay_alu instid0(VALU_DEP_4) | instskip(NEXT) | instid1(VALU_DEP_4)
	v_fma_f16 v106, v106, v159, -v155
	v_mul_f16_e64 v159, v107, v90
	s_delay_alu instid0(VALU_DEP_3) | instskip(NEXT) | instid1(VALU_DEP_3)
	v_mul_f16_e64 v155, v91, v90
	v_pack_b32_f16 v87, v106, v163
	s_delay_alu instid0(VALU_DEP_3)
	v_fmac_f16_e64 v159, v91, v161
	ds_load_2addr_b32 v[90:91], v86 offset0:148 offset1:211
	v_fma_f16 v107, v107, v161, -v155
	v_lshrrev_b32_e32 v155, 16, v164
	ds_store_2addr_b32 v146, v85, v87 offset0:59 offset1:122
	v_pack_b32_f16 v85, v101, v158
	v_pack_b32_f16 v87, v107, v159
	ds_store_2addr_b32 v148, v85, v87 offset0:72 offset1:135
	v_pack_b32_f16 v85, v103, v160
	s_wait_dscnt 0x2
	v_lshrrev_b32_e32 v161, 16, v90
	v_mul_f16_e64 v168, v90, v155
	s_delay_alu instid0(VALU_DEP_2) | instskip(NEXT) | instid1(VALU_DEP_2)
	v_mul_f16_e64 v155, v161, v155
	v_fmac_f16_e64 v168, v161, v164
	v_lshrrev_b32_e32 v161, 16, v91
	s_delay_alu instid0(VALU_DEP_3) | instskip(SKIP_1) | instid1(VALU_DEP_2)
	v_fma_f16 v90, v90, v164, -v155
	v_lshrrev_b32_e32 v155, 16, v165
	v_pack_b32_f16 v87, v90, v168
	s_delay_alu instid0(VALU_DEP_2) | instskip(SKIP_4) | instid1(VALU_DEP_1)
	v_mul_f16_e64 v164, v161, v155
	v_mul_f16_e64 v155, v91, v155
	ds_store_2addr_b32 v86, v85, v87 offset0:85 offset1:148
	v_fma_f16 v91, v91, v165, -v164
	v_fmac_f16_e64 v155, v161, v165
	v_pack_b32_f16 v85, v91, v155
	ds_store_b32 v109, v85 offset:5964
	s_and_saveexec_b32 s1, vcc_lo
	s_cbranch_execz .LBB0_17
; %bb.16:
	s_wait_alu 0xfffe
	v_add_co_u32 v90, s2, s2, v109
	s_wait_alu 0xf1ff
	v_add_co_ci_u32_e64 v91, null, s3, 0, s2
	s_clause 0x2
	global_load_b32 v85, v[90:91], off offset:2016
	global_load_b32 v87, v[90:91], off offset:4116
	;; [unrolled: 1-line block ×3, first 2 shown]
	ds_load_b32 v91, v109 offset:2016
	ds_load_b32 v92, v109 offset:4116
	;; [unrolled: 1-line block ×3, first 2 shown]
	s_wait_dscnt 0x2
	v_lshrrev_b32_e32 v94, 16, v91
	s_wait_dscnt 0x1
	v_lshrrev_b32_e32 v97, 16, v92
	;; [unrolled: 2-line block ×3, first 2 shown]
	s_wait_loadcnt 0x2
	v_lshrrev_b32_e32 v96, 16, v85
	s_wait_loadcnt 0x1
	v_lshrrev_b32_e32 v98, 16, v87
	;; [unrolled: 2-line block ×3, first 2 shown]
	v_mul_f16_e32 v101, v94, v96
	v_mul_f16_e32 v96, v91, v96
	;; [unrolled: 1-line block ×6, first 2 shown]
	v_fma_f16 v91, v91, v85, -v101
	v_fmac_f16_e32 v96, v94, v85
	v_fma_f16 v85, v92, v87, -v102
	v_fmac_f16_e32 v98, v97, v87
	;; [unrolled: 2-line block ×3, first 2 shown]
	v_pack_b32_f16 v90, v91, v96
	s_delay_alu instid0(VALU_DEP_4) | instskip(NEXT) | instid1(VALU_DEP_3)
	v_pack_b32_f16 v85, v85, v98
	v_pack_b32_f16 v87, v87, v100
	ds_store_b32 v109, v90 offset:2016
	ds_store_b32 v109, v85 offset:4116
	;; [unrolled: 1-line block ×3, first 2 shown]
.LBB0_17:
	s_wait_alu 0xfffe
	s_or_b32 exec_lo, exec_lo, s1
	global_wb scope:SCOPE_SE
	s_wait_dscnt 0x0
	s_barrier_signal -1
	s_barrier_wait -1
	global_inv scope:SCOPE_SE
	ds_load_2addr_b32 v[105:106], v109 offset1:63
	ds_load_2addr_b32 v[107:108], v89 offset0:13 offset1:76
	ds_load_2addr_b32 v[103:104], v88 offset0:26 offset1:89
	;; [unrolled: 1-line block ×11, first 2 shown]
	s_and_saveexec_b32 s1, vcc_lo
	s_cbranch_execz .LBB0_19
; %bb.18:
	ds_load_b32 v152, v109 offset:2016
	ds_load_b32 v139, v109 offset:4116
	;; [unrolled: 1-line block ×3, first 2 shown]
	s_wait_dscnt 0x2
	v_lshrrev_b32_e32 v153, 16, v152
	s_wait_dscnt 0x1
	v_lshrrev_b32_e32 v145, 16, v139
	;; [unrolled: 2-line block ×3, first 2 shown]
.LBB0_19:
	s_wait_alu 0xfffe
	s_or_b32 exec_lo, exec_lo, s1
	s_wait_dscnt 0x9
	v_pk_add_f16 v146, v107, v103
	v_pk_add_f16 v148, v107, v103 neg_lo:[0,1] neg_hi:[0,1]
	global_wb scope:SCOPE_SE
	s_wait_dscnt 0x0
	s_barrier_signal -1
	s_barrier_wait -1
	v_pk_fma_f16 v146, v146, 0.5, v105 op_sel_hi:[1,0,1] neg_lo:[1,0,0] neg_hi:[1,0,0]
	v_pk_mul_f16 v148, 0x3aee, v148 op_sel_hi:[0,1]
	v_pk_add_f16 v105, v105, v107
	global_inv scope:SCOPE_SE
	v_pk_add_f16 v155, v108, v104 neg_lo:[0,1] neg_hi:[0,1]
	v_pk_add_f16 v107, v146, v148 op_sel:[0,1] op_sel_hi:[1,0] neg_lo:[0,1] neg_hi:[0,1]
	v_pk_add_f16 v146, v146, v148 op_sel:[0,1] op_sel_hi:[1,0]
	v_pk_add_f16 v148, v108, v104
	v_pk_add_f16 v108, v106, v108
	;; [unrolled: 1-line block ×3, first 2 shown]
	s_delay_alu instid0(VALU_DEP_4) | instskip(NEXT) | instid1(VALU_DEP_4)
	v_bfi_b32 v105, 0xffff, v107, v146
	v_pk_fma_f16 v106, v148, 0.5, v106 op_sel_hi:[1,0,1] neg_lo:[1,0,0] neg_hi:[1,0,0]
	scratch_load_b32 v148, off, off offset:56 th:TH_LOAD_LU ; 4-byte Folded Reload
	v_bfi_b32 v107, 0xffff, v146, v107
	v_pk_mul_f16 v146, 0x3aee, v155 op_sel_hi:[0,1]
	v_pk_add_f16 v104, v108, v104
	v_add_f16_e64 v108, v152, v139
	v_sub_f16_e64 v155, v145, v138
	s_wait_loadcnt 0x0
	ds_store_2addr_b32 v148, v103, v105 offset1:1
	ds_store_b32 v148, v107 offset:8
	v_add_f16_e64 v103, v142, v139
	v_pk_add_f16 v107, v106, v146 op_sel:[0,1] op_sel_hi:[1,0] neg_lo:[0,1] neg_hi:[0,1]
	v_pk_add_f16 v106, v106, v146 op_sel:[0,1] op_sel_hi:[1,0]
	v_pk_add_f16 v146, v101, v97
	v_pk_add_f16 v148, v101, v97 neg_lo:[0,1] neg_hi:[0,1]
	v_add_f16_e64 v105, v138, v145
	v_fmac_f16_e64 v152, -0.5, v103
	v_add_f16_e64 v103, v153, v145
	v_add_f16_e64 v145, v142, v108
	v_sub_f16_e64 v108, v139, v142
	v_pk_fma_f16 v142, v146, 0.5, v99 op_sel_hi:[1,0,1] neg_lo:[1,0,0] neg_hi:[1,0,0]
	v_pk_mul_f16 v146, 0x3aee, v148 op_sel_hi:[0,1]
	v_fmac_f16_e64 v153, -0.5, v105
	v_bfi_b32 v105, 0xffff, v107, v106
	v_pk_add_f16 v99, v99, v101
	v_bfi_b32 v101, 0xffff, v106, v107
	v_pk_add_f16 v106, v142, v146 op_sel:[0,1] op_sel_hi:[1,0] neg_lo:[0,1] neg_hi:[0,1]
	v_pk_add_f16 v107, v142, v146 op_sel:[0,1] op_sel_hi:[1,0]
	scratch_load_b32 v142, off, off offset:36 th:TH_LOAD_LU ; 4-byte Folded Reload
	v_pk_add_f16 v146, v100, v102
	v_pk_add_f16 v97, v99, v97
	;; [unrolled: 1-line block ×3, first 2 shown]
	v_add_f16_e64 v138, v138, v103
	v_pk_add_f16 v103, v88, v92
	v_fma_f16 v139, 0xbaee, v155, v152
	v_fmac_f16_e64 v152, 0x3aee, v155
	s_wait_loadcnt 0x0
	ds_store_2addr_b32 v142, v104, v105 offset1:1
	ds_store_b32 v142, v101 offset:8
	v_pk_add_f16 v101, v102, v98
	v_pk_add_f16 v102, v102, v98 neg_lo:[0,1] neg_hi:[0,1]
	v_pk_add_f16 v104, v93, v95
	v_pk_add_f16 v95, v95, v89 neg_lo:[0,1] neg_hi:[0,1]
	v_pk_fma_f16 v93, v148, 0.5, v93 op_sel_hi:[1,0,1] neg_lo:[1,0,0] neg_hi:[1,0,0]
	v_pk_fma_f16 v99, v101, 0.5, v100 op_sel_hi:[1,0,1] neg_lo:[1,0,0] neg_hi:[1,0,0]
	v_pk_mul_f16 v102, 0x3aee, v102 op_sel_hi:[0,1]
	v_bfi_b32 v100, 0xffff, v106, v107
	v_bfi_b32 v106, 0xffff, v107, v106
	v_pk_mul_f16 v95, 0x3aee, v95 op_sel_hi:[0,1]
	v_pk_add_f16 v105, v94, v96
	v_pk_add_f16 v107, v99, v102 op_sel:[0,1] op_sel_hi:[1,0] neg_lo:[0,1] neg_hi:[0,1]
	v_pk_add_f16 v99, v99, v102 op_sel:[0,1] op_sel_hi:[1,0]
	scratch_load_b32 v102, off, off offset:24 th:TH_LOAD_LU ; 4-byte Folded Reload
	v_pk_add_f16 v89, v104, v89
	v_pk_add_f16 v101, v87, v91
	v_fma_f16 v142, 0x3aee, v108, v153
	v_fmac_f16_e64 v153, 0xbaee, v108
	s_wait_loadcnt 0x0
	ds_store_2addr_b32 v102, v97, v100 offset1:1
	ds_store_b32 v102, v106 offset:8
	v_pk_add_f16 v97, v146, v98
	v_bfi_b32 v98, 0xffff, v107, v99
	v_pk_add_f16 v100, v93, v95 op_sel:[0,1] op_sel_hi:[1,0] neg_lo:[0,1] neg_hi:[0,1]
	v_pk_add_f16 v93, v93, v95 op_sel:[0,1] op_sel_hi:[1,0]
	v_bfi_b32 v95, 0xffff, v99, v107
	v_pk_add_f16 v99, v96, v90
	v_pk_add_f16 v96, v96, v90 neg_lo:[0,1] neg_hi:[0,1]
	v_pk_add_f16 v90, v105, v90
	v_bfi_b32 v102, 0xffff, v100, v93
	v_bfi_b32 v93, 0xffff, v93, v100
	v_pk_fma_f16 v94, v99, 0.5, v94 op_sel_hi:[1,0,1] neg_lo:[1,0,0] neg_hi:[1,0,0]
	scratch_load_b32 v99, off, off offset:32 th:TH_LOAD_LU ; 4-byte Folded Reload
	v_pk_mul_f16 v96, 0x3aee, v96 op_sel_hi:[0,1]
	s_wait_loadcnt 0x0
	ds_store_2addr_b32 v99, v97, v98 offset1:1
	ds_store_b32 v99, v95 offset:8
	scratch_load_b32 v95, off, off offset:40 th:TH_LOAD_LU ; 4-byte Folded Reload
	s_wait_loadcnt 0x0
	ds_store_2addr_b32 v95, v89, v102 offset1:1
	ds_store_b32 v95, v93 offset:8
	v_pk_add_f16 v93, v91, v85
	v_pk_add_f16 v91, v91, v85 neg_lo:[0,1] neg_hi:[0,1]
	v_pk_add_f16 v95, v92, v86
	v_pk_add_f16 v92, v92, v86 neg_lo:[0,1] neg_hi:[0,1]
	v_pk_add_f16 v89, v94, v96 op_sel:[0,1] op_sel_hi:[1,0] neg_lo:[0,1] neg_hi:[0,1]
	v_pk_fma_f16 v87, v93, 0.5, v87 op_sel_hi:[1,0,1] neg_lo:[1,0,0] neg_hi:[1,0,0]
	v_pk_mul_f16 v91, 0x3aee, v91 op_sel_hi:[0,1]
	v_pk_fma_f16 v88, v95, 0.5, v88 op_sel_hi:[1,0,1] neg_lo:[1,0,0] neg_hi:[1,0,0]
	v_pk_mul_f16 v92, 0x3aee, v92 op_sel_hi:[0,1]
	v_pk_add_f16 v94, v94, v96 op_sel:[0,1] op_sel_hi:[1,0]
	v_pk_add_f16 v85, v101, v85
	v_pk_add_f16 v95, v87, v91 op_sel:[0,1] op_sel_hi:[1,0] neg_lo:[0,1] neg_hi:[0,1]
	v_pk_add_f16 v87, v87, v91 op_sel:[0,1] op_sel_hi:[1,0]
	v_pk_add_f16 v91, v88, v92 op_sel:[0,1] op_sel_hi:[1,0] neg_lo:[0,1] neg_hi:[0,1]
	v_pk_add_f16 v88, v88, v92 op_sel:[0,1] op_sel_hi:[1,0]
	v_bfi_b32 v93, 0xffff, v89, v94
	v_bfi_b32 v89, 0xffff, v94, v89
	;; [unrolled: 1-line block ×6, first 2 shown]
	scratch_load_b32 v91, off, off offset:28 th:TH_LOAD_LU ; 4-byte Folded Reload
	v_pk_add_f16 v86, v103, v86
	s_wait_loadcnt 0x0
	ds_store_2addr_b32 v91, v90, v93 offset1:1
	ds_store_b32 v91, v89 offset:8
	scratch_load_b32 v89, off, off offset:48 th:TH_LOAD_LU ; 4-byte Folded Reload
	s_wait_loadcnt 0x0
	ds_store_2addr_b32 v89, v85, v92 offset1:1
	ds_store_b32 v89, v87 offset:8
	scratch_load_b32 v85, off, off offset:52 th:TH_LOAD_LU ; 4-byte Folded Reload
	s_wait_loadcnt 0x0
	ds_store_2addr_b32 v85, v86, v94 offset1:1
	ds_store_b32 v85, v88 offset:8
	s_and_saveexec_b32 s1, vcc_lo
	s_cbranch_execz .LBB0_21
; %bb.20:
	scratch_load_b32 v85, off, off offset:72 th:TH_LOAD_LU ; 4-byte Folded Reload
	v_perm_b32 v86, v142, v139, 0x5040100
	v_perm_b32 v87, v138, v145, 0x5040100
	;; [unrolled: 1-line block ×3, first 2 shown]
	s_wait_loadcnt 0x0
	v_lshlrev_b32_e32 v85, 2, v85
	ds_store_2addr_b32 v85, v87, v86 offset1:1
	ds_store_b32 v85, v88 offset:8
.LBB0_21:
	s_wait_alu 0xfffe
	s_or_b32 exec_lo, exec_lo, s1
	v_add_nc_u32_e32 v85, 0x800, v109
	v_add_nc_u32_e32 v86, 0x1000, v109
	global_wb scope:SCOPE_SE
	s_wait_dscnt 0x0
	s_barrier_signal -1
	s_barrier_wait -1
	global_inv scope:SCOPE_SE
	ds_load_2addr_b32 v[91:92], v109 offset1:63
	ds_load_2addr_b32 v[107:108], v85 offset0:13 offset1:76
	ds_load_2addr_b32 v[105:106], v86 offset0:26 offset1:89
	;; [unrolled: 1-line block ×4, first 2 shown]
	v_add_nc_u32_e32 v85, 0x200, v109
	v_add_nc_u32_e32 v93, 0xc00, v109
	;; [unrolled: 1-line block ×4, first 2 shown]
	ds_load_2addr_b32 v[101:102], v86 offset0:152 offset1:215
	ds_load_2addr_b32 v[87:88], v85 offset0:124 offset1:187
	;; [unrolled: 1-line block ×7, first 2 shown]
	s_and_saveexec_b32 s1, vcc_lo
	s_cbranch_execz .LBB0_23
; %bb.22:
	ds_load_b32 v145, v109 offset:2016
	ds_load_b32 v139, v109 offset:4116
	;; [unrolled: 1-line block ×3, first 2 shown]
	s_wait_dscnt 0x2
	v_lshrrev_b32_e32 v138, 16, v145
	s_wait_dscnt 0x1
	v_lshrrev_b32_e32 v142, 16, v139
	;; [unrolled: 2-line block ×3, first 2 shown]
.LBB0_23:
	s_wait_alu 0xfffe
	s_or_b32 exec_lo, exec_lo, s1
	s_wait_dscnt 0xa
	v_lshrrev_b32_e32 v146, 16, v107
	v_mul_f16_e64 v148, v196, v107
	s_wait_dscnt 0x9
	v_mul_f16_e64 v157, v194, v105
	global_wb scope:SCOPE_SE
	s_wait_dscnt 0x0
	s_barrier_signal -1
	v_mul_f16_e64 v155, v196, v146
	v_fma_f16 v146, v75, v146, -v148
	v_lshrrev_b32_e32 v148, 16, v105
	s_barrier_wait -1
	global_inv scope:SCOPE_SE
	v_fmac_f16_e64 v155, v75, v107
	v_lshrrev_b32_e32 v75, 16, v108
	v_mul_f16_e64 v158, v194, v148
	v_fma_f16 v148, v76, v148, -v157
	v_lshrrev_b32_e32 v107, 16, v106
	v_mul_f16_e64 v157, v192, v106
	s_delay_alu instid0(VALU_DEP_4) | instskip(SKIP_2) | instid1(VALU_DEP_2)
	v_fmac_f16_e64 v158, v76, v105
	v_mul_f16_e64 v76, v193, v75
	v_mul_f16_e64 v105, v193, v108
	v_fmac_f16_e32 v76, v71, v108
	v_mul_f16_e64 v108, v192, v107
	s_delay_alu instid0(VALU_DEP_3) | instskip(SKIP_2) | instid1(VALU_DEP_4)
	v_fma_f16 v71, v71, v75, -v105
	v_lshrrev_b32_e32 v75, 16, v103
	v_mul_f16_e64 v105, v191, v103
	v_fmac_f16_e32 v108, v72, v106
	v_fma_f16 v72, v72, v107, -v157
	s_delay_alu instid0(VALU_DEP_4) | instskip(NEXT) | instid1(VALU_DEP_4)
	v_mul_f16_e64 v106, v191, v75
	v_fma_f16 v75, v65, v75, -v105
	v_lshrrev_b32_e32 v105, 16, v101
	v_mul_f16_e64 v107, v190, v101
	s_delay_alu instid0(VALU_DEP_4) | instskip(SKIP_1) | instid1(VALU_DEP_4)
	v_fmac_f16_e32 v106, v65, v103
	v_lshrrev_b32_e32 v65, 16, v104
	v_mul_f16_e64 v157, v190, v105
	s_delay_alu instid0(VALU_DEP_4) | instskip(SKIP_2) | instid1(VALU_DEP_4)
	v_fma_f16 v105, v66, v105, -v107
	v_lshrrev_b32_e32 v103, 16, v102
	v_mul_f16_e64 v107, v187, v102
	v_fmac_f16_e64 v157, v66, v101
	v_mul_f16_e64 v66, v189, v65
	v_mul_f16_e64 v101, v189, v104
	s_delay_alu instid0(VALU_DEP_2) | instskip(SKIP_1) | instid1(VALU_DEP_3)
	v_fmac_f16_e32 v66, v61, v104
	v_mul_f16_e64 v104, v187, v103
	v_fma_f16 v65, v61, v65, -v101
	v_fma_f16 v101, v62, v103, -v107
	v_lshrrev_b32_e32 v61, 16, v99
	s_delay_alu instid0(VALU_DEP_4) | instskip(SKIP_1) | instid1(VALU_DEP_3)
	v_fmac_f16_e32 v104, v62, v102
	v_mul_f16_e64 v62, v188, v99
	v_mul_f16_e64 v102, v188, v61
	s_delay_alu instid0(VALU_DEP_2) | instskip(SKIP_2) | instid1(VALU_DEP_4)
	v_fma_f16 v103, v73, v61, -v62
	v_lshrrev_b32_e32 v61, 16, v97
	v_mul_f16_e64 v62, v186, v97
	v_fmac_f16_e32 v102, v73, v99
	v_lshrrev_b32_e32 v99, 16, v70
	s_delay_alu instid0(VALU_DEP_4) | instskip(NEXT) | instid1(VALU_DEP_4)
	v_mul_f16_e64 v107, v186, v61
	v_fma_f16 v159, v74, v61, -v62
	v_lshrrev_b32_e32 v61, 16, v100
	v_lshrrev_b32_e32 v62, 16, v69
	s_delay_alu instid0(VALU_DEP_4) | instskip(SKIP_1) | instid1(VALU_DEP_3)
	v_fmac_f16_e32 v107, v74, v97
	v_lshrrev_b32_e32 v74, 16, v98
	v_mul_f16_e32 v73, v62, v61
	v_mul_f16_e32 v62, v62, v100
	s_delay_alu instid0(VALU_DEP_3) | instskip(SKIP_1) | instid1(VALU_DEP_4)
	v_mul_f16_e32 v97, v99, v74
	v_mul_f16_e32 v99, v99, v98
	v_fmac_f16_e32 v73, v69, v100
	s_delay_alu instid0(VALU_DEP_4)
	v_fma_f16 v69, v69, v61, -v62
	v_lshrrev_b32_e32 v61, 16, v95
	v_fmac_f16_e32 v97, v70, v98
	v_fma_f16 v70, v70, v74, -v99
	v_lshrrev_b32_e32 v74, 16, v67
	v_lshrrev_b32_e32 v99, 16, v68
	s_delay_alu instid0(VALU_DEP_2) | instskip(SKIP_1) | instid1(VALU_DEP_2)
	v_mul_f16_e32 v62, v74, v95
	v_mul_f16_e32 v74, v74, v61
	v_fma_f16 v98, v67, v61, -v62
	v_lshrrev_b32_e32 v61, 16, v93
	v_mul_f16_e32 v62, v99, v93
	s_delay_alu instid0(VALU_DEP_4) | instskip(SKIP_1) | instid1(VALU_DEP_4)
	v_fmac_f16_e32 v74, v67, v95
	v_lshrrev_b32_e32 v95, 16, v64
	v_mul_f16_e32 v99, v99, v61
	s_delay_alu instid0(VALU_DEP_4) | instskip(SKIP_2) | instid1(VALU_DEP_4)
	v_fma_f16 v100, v68, v61, -v62
	v_lshrrev_b32_e32 v61, 16, v96
	v_lshrrev_b32_e32 v62, 16, v63
	v_fmac_f16_e32 v99, v68, v93
	v_lshrrev_b32_e32 v68, 16, v94
	s_delay_alu instid0(VALU_DEP_3) | instskip(SKIP_1) | instid1(VALU_DEP_3)
	v_mul_f16_e32 v67, v62, v61
	v_mul_f16_e32 v62, v62, v96
	;; [unrolled: 1-line block ×4, first 2 shown]
	s_delay_alu instid0(VALU_DEP_4) | instskip(SKIP_1) | instid1(VALU_DEP_4)
	v_fmac_f16_e32 v67, v63, v96
	v_add_f16_e64 v96, v91, v155
	v_fmac_f16_e32 v93, v64, v94
	v_fma_f16 v94, v63, v61, -v62
	v_lshrrev_b32_e32 v62, 16, v59
	v_fma_f16 v68, v64, v68, -v95
	v_add_f16_e64 v96, v96, v158
	s_delay_alu instid0(VALU_DEP_3) | instskip(SKIP_1) | instid1(VALU_DEP_2)
	v_mul_f16_e64 v61, v62, v142
	v_mul_f16_e64 v62, v62, v139
	v_fmac_f16_e64 v61, v59, v139
	s_delay_alu instid0(VALU_DEP_2) | instskip(SKIP_3) | instid1(VALU_DEP_3)
	v_fma_f16 v63, v59, v142, -v62
	v_lshrrev_b32_e32 v59, 16, v60
	v_add_f16_e64 v139, v155, v158
	v_sub_f16_e64 v142, v155, v158
	v_mul_f16_e64 v62, v59, v153
	v_mul_f16_e64 v59, v59, v152
	s_delay_alu instid0(VALU_DEP_2) | instskip(NEXT) | instid1(VALU_DEP_2)
	v_fmac_f16_e64 v62, v60, v152
	v_fma_f16 v64, v60, v153, -v59
	v_lshrrev_b32_e32 v59, 16, v91
	v_add_f16_e64 v60, v146, v148
	v_fma_f16 v91, -0.5, v139, v91
	s_delay_alu instid0(VALU_DEP_3) | instskip(NEXT) | instid1(VALU_DEP_3)
	v_add_f16_e64 v95, v59, v146
	v_fmac_f16_e32 v59, -0.5, v60
	v_sub_f16_e64 v60, v146, v148
	s_delay_alu instid0(VALU_DEP_3)
	v_add_f16_e64 v95, v95, v148
	scratch_load_b32 v148, off, off offset:64 th:TH_LOAD_LU ; 4-byte Folded Reload
	v_fma_f16 v139, 0x3aee, v142, v59
	v_fmac_f16_e64 v59, 0xbaee, v142
	v_pack_b32_f16 v95, v96, v95
	v_fmamk_f16 v96, v60, 0xbaee, v91
	v_fmac_f16_e32 v91, 0x3aee, v60
	s_delay_alu instid0(VALU_DEP_2) | instskip(SKIP_1) | instid1(VALU_DEP_3)
	v_pack_b32_f16 v96, v96, v139
	v_add_f16_e64 v139, v92, v76
	v_pack_b32_f16 v59, v91, v59
	v_sub_f16_e64 v91, v106, v157
	s_wait_loadcnt 0x0
	ds_store_2addr_b32 v148, v95, v96 offset1:3
	v_add_f16_e32 v95, v76, v108
	v_lshrrev_b32_e32 v96, 16, v92
	v_sub_f16_e32 v76, v76, v108
	ds_store_b32 v148, v59 offset:24
	v_add_f16_e64 v59, v139, v108
	v_fmac_f16_e32 v92, -0.5, v95
	v_sub_f16_e32 v95, v71, v72
	s_delay_alu instid0(VALU_DEP_1) | instskip(SKIP_3) | instid1(VALU_DEP_2)
	v_fma_f16 v146, 0xbaee, v95, v92
	v_fmac_f16_e32 v92, 0x3aee, v95
	v_add_f16_e32 v95, v71, v72
	v_add_f16_e32 v71, v96, v71
	v_fmac_f16_e32 v96, -0.5, v95
	s_delay_alu instid0(VALU_DEP_2) | instskip(SKIP_1) | instid1(VALU_DEP_3)
	v_add_f16_e32 v60, v71, v72
	v_add_f16_e32 v72, v89, v106
	v_fmamk_f16 v95, v76, 0x3aee, v96
	v_fmac_f16_e32 v96, 0xbaee, v76
	s_delay_alu instid0(VALU_DEP_4) | instskip(NEXT) | instid1(VALU_DEP_4)
	v_pack_b32_f16 v59, v59, v60
	v_add_f16_e64 v72, v72, v157
	s_delay_alu instid0(VALU_DEP_4) | instskip(NEXT) | instid1(VALU_DEP_4)
	v_pack_b32_f16 v60, v146, v95
	v_pack_b32_f16 v76, v92, v96
	scratch_load_b32 v92, off, off offset:60 th:TH_LOAD_LU ; 4-byte Folded Reload
	s_wait_loadcnt 0x0
	ds_store_b32 v92, v76 offset:24
	scratch_load_b32 v76, off, off offset:44 th:TH_LOAD_LU ; 4-byte Folded Reload
	ds_store_2addr_b32 v92, v59, v60 offset1:3
	v_lshrrev_b32_e32 v59, 16, v89
	v_add_f16_e32 v60, v75, v105
	s_delay_alu instid0(VALU_DEP_2) | instskip(NEXT) | instid1(VALU_DEP_2)
	v_add_f16_e32 v71, v59, v75
	v_fmac_f16_e32 v59, -0.5, v60
	v_sub_f16_e32 v60, v75, v105
	v_add_f16_e64 v75, v106, v157
	s_delay_alu instid0(VALU_DEP_4) | instskip(NEXT) | instid1(VALU_DEP_1)
	v_add_f16_e32 v71, v71, v105
	v_pack_b32_f16 v71, v72, v71
	s_delay_alu instid0(VALU_DEP_3) | instskip(SKIP_2) | instid1(VALU_DEP_3)
	v_fma_f16 v72, -0.5, v75, v89
	v_fmamk_f16 v89, v91, 0x3aee, v59
	v_fmac_f16_e32 v59, 0xbaee, v91
	v_fmamk_f16 v75, v60, 0xbaee, v72
	v_fmac_f16_e32 v72, 0x3aee, v60
	v_add_f16_e32 v60, v66, v104
	s_delay_alu instid0(VALU_DEP_3) | instskip(NEXT) | instid1(VALU_DEP_3)
	v_pack_b32_f16 v75, v75, v89
	v_pack_b32_f16 v59, v72, v59
	v_add_f16_e32 v72, v65, v101
	v_add_f16_e32 v89, v88, v73
	s_wait_loadcnt 0x0
	ds_store_2addr_b32 v76, v71, v75 offset1:3
	v_lshrrev_b32_e32 v71, 16, v90
	v_add_f16_e32 v75, v90, v66
	v_fmac_f16_e32 v90, -0.5, v60
	v_sub_f16_e32 v66, v66, v104
	ds_store_b32 v76, v59 offset:24
	v_add_f16_e32 v60, v71, v65
	v_sub_f16_e32 v65, v65, v101
	v_fmac_f16_e32 v71, -0.5, v72
	v_add_f16_e32 v59, v75, v104
	v_add_f16_e32 v76, v102, v107
	;; [unrolled: 1-line block ×3, first 2 shown]
	scratch_load_b32 v101, off, off offset:20 th:TH_LOAD_LU ; 4-byte Folded Reload
	v_fmamk_f16 v72, v65, 0xbaee, v90
	v_fmamk_f16 v75, v66, 0x3aee, v71
	v_fmac_f16_e32 v90, 0x3aee, v65
	v_fmac_f16_e32 v71, 0xbaee, v66
	v_pack_b32_f16 v59, v59, v60
	v_fma_f16 v65, -0.5, v76, v87
	v_pack_b32_f16 v60, v72, v75
	v_lshrrev_b32_e32 v72, 16, v87
	v_pack_b32_f16 v71, v90, v71
	v_sub_f16_e64 v66, v103, v159
	v_add_f16_e32 v75, v87, v102
	v_lshrrev_b32_e32 v87, 16, v88
	s_delay_alu instid0(VALU_DEP_3) | instskip(SKIP_1) | instid1(VALU_DEP_4)
	v_fmamk_f16 v76, v66, 0xbaee, v65
	v_fmac_f16_e32 v65, 0x3aee, v66
	v_add_f16_e32 v66, v75, v107
	v_add_f16_e32 v75, v73, v97
	s_delay_alu instid0(VALU_DEP_1) | instskip(SKIP_1) | instid1(VALU_DEP_1)
	v_fmac_f16_e32 v88, -0.5, v75
	v_sub_f16_e32 v75, v69, v70
	v_fmamk_f16 v92, v75, 0xbaee, v88
	v_fmac_f16_e32 v88, 0x3aee, v75
	s_wait_loadcnt 0x0
	ds_store_b32 v101, v71 offset:24
	scratch_load_b32 v71, off, off offset:16 th:TH_LOAD_LU ; 4-byte Folded Reload
	ds_store_2addr_b32 v101, v59, v60 offset1:3
	v_add_f16_e64 v59, v103, v159
	v_add_f16_e32 v60, v72, v103
	s_delay_alu instid0(VALU_DEP_2) | instskip(SKIP_1) | instid1(VALU_DEP_3)
	v_fmac_f16_e32 v72, -0.5, v59
	v_sub_f16_e32 v59, v102, v107
	v_add_f16_e64 v90, v60, v159
	v_add_f16_e32 v60, v69, v70
	s_delay_alu instid0(VALU_DEP_3) | instskip(SKIP_1) | instid1(VALU_DEP_4)
	v_fmamk_f16 v91, v59, 0x3aee, v72
	v_fmac_f16_e32 v72, 0xbaee, v59
	v_pack_b32_f16 v66, v66, v90
	v_add_f16_e32 v59, v87, v69
	v_fmac_f16_e32 v87, -0.5, v60
	v_pack_b32_f16 v76, v76, v91
	v_pack_b32_f16 v65, v65, v72
	v_sub_f16_e32 v69, v73, v97
	v_add_f16_e32 v73, v89, v97
	v_add_f16_e32 v60, v74, v99
	;; [unrolled: 1-line block ×3, first 2 shown]
	v_sub_f16_e32 v59, v98, v100
	v_fmamk_f16 v89, v69, 0x3aee, v87
	v_fmac_f16_e32 v87, 0xbaee, v69
	v_fma_f16 v75, -0.5, v60, v85
	v_lshrrev_b32_e32 v69, 16, v85
	v_add_f16_e32 v60, v98, v100
	v_add_f16_e32 v85, v85, v74
	v_sub_f16_e32 v74, v74, v99
	v_fmamk_f16 v95, v59, 0xbaee, v75
	v_fmac_f16_e32 v75, 0x3aee, v59
	v_add_f16_e32 v59, v69, v98
	v_fmac_f16_e32 v69, -0.5, v60
	v_add_f16_e32 v85, v85, v99
	v_pack_b32_f16 v70, v73, v70
	v_pack_b32_f16 v72, v92, v89
	v_add_f16_e32 v96, v59, v100
	v_fmamk_f16 v98, v74, 0x3aee, v69
	v_fmac_f16_e32 v69, 0xbaee, v74
	v_add_f16_e32 v60, v67, v93
	v_lshrrev_b32_e32 v97, 16, v86
	v_add_f16_e32 v59, v86, v67
	v_sub_f16_e32 v90, v61, v62
	v_pack_b32_f16 v69, v75, v69
	v_fmac_f16_e32 v86, -0.5, v60
	v_add_f16_e32 v60, v94, v68
	v_add_f16_e32 v74, v97, v94
	v_sub_f16_e32 v94, v94, v68
	v_add_f16_e32 v99, v59, v93
	v_sub_f16_e32 v59, v67, v93
	v_fmac_f16_e32 v97, -0.5, v60
	v_add_f16_e32 v60, v62, v61
	v_sub_f16_e32 v67, v63, v64
	v_add_f16_e32 v74, v74, v68
	v_add_f16_e32 v68, v64, v63
	v_fmamk_f16 v93, v94, 0xbaee, v86
	v_fma_f16 v60, -0.5, v60, v145
	v_fmac_f16_e32 v86, 0x3aee, v94
	v_fmamk_f16 v94, v59, 0x3aee, v97
	v_fmac_f16_e32 v97, 0xbaee, v59
	s_wait_loadcnt 0x0
	ds_store_2addr_b32 v71, v66, v76 offset1:3
	ds_store_b32 v71, v65 offset:24
	scratch_load_b32 v76, off, off offset:12 th:TH_LOAD_LU ; 4-byte Folded Reload
	v_pack_b32_f16 v65, v88, v87
	v_pack_b32_f16 v66, v85, v96
	v_fmamk_f16 v59, v67, 0xbaee, v60
	v_fmac_f16_e32 v60, 0x3aee, v67
	v_fma_f16 v67, -0.5, v68, v138
	v_pack_b32_f16 v71, v99, v74
	v_pack_b32_f16 v73, v86, v97
	s_delay_alu instid0(VALU_DEP_3)
	v_fmamk_f16 v68, v90, 0x3aee, v67
	v_fmac_f16_e32 v67, 0xbaee, v90
	s_wait_loadcnt 0x0
	ds_store_b32 v76, v65 offset:24
	scratch_load_b32 v65, off, off offset:8 th:TH_LOAD_LU ; 4-byte Folded Reload
	ds_store_2addr_b32 v76, v70, v72 offset1:3
	v_pack_b32_f16 v70, v95, v98
	v_pack_b32_f16 v72, v93, v94
	s_wait_loadcnt 0x0
	ds_store_2addr_b32 v65, v66, v70 offset1:3
	ds_store_b32 v65, v69 offset:24
	scratch_load_b32 v65, off, off offset:4 th:TH_LOAD_LU ; 4-byte Folded Reload
	s_wait_loadcnt 0x0
	ds_store_2addr_b32 v65, v71, v72 offset1:3
	ds_store_b32 v65, v73 offset:24
	s_and_saveexec_b32 s1, vcc_lo
	s_cbranch_execz .LBB0_25
; %bb.24:
	scratch_load_b32 v65, off, off th:TH_LOAD_LU ; 4-byte Folded Reload
	v_add_f16_e64 v63, v138, v63
	v_add_f16_e64 v61, v145, v61
	s_delay_alu instid0(VALU_DEP_2) | instskip(NEXT) | instid1(VALU_DEP_2)
	v_add_f16_e32 v63, v64, v63
	v_add_f16_e32 v61, v62, v61
	v_perm_b32 v62, v68, v59, 0x5040100
	s_delay_alu instid0(VALU_DEP_2) | instskip(SKIP_3) | instid1(VALU_DEP_1)
	v_pack_b32_f16 v61, v61, v63
	v_perm_b32 v63, v67, v60, 0x5040100
	s_wait_loadcnt 0x0
	v_and_b32_e32 v65, 0xffff, v65
	v_lshlrev_b32_e32 v64, 2, v65
	ds_store_2addr_b32 v64, v61, v62 offset1:3
	ds_store_b32 v64, v63 offset:24
.LBB0_25:
	s_wait_alu 0xfffe
	s_or_b32 exec_lo, exec_lo, s1
	v_add_nc_u32_e32 v61, 0x200, v109
	v_add_nc_u32_e32 v70, 0x800, v109
	;; [unrolled: 1-line block ×3, first 2 shown]
	global_wb scope:SCOPE_SE
	s_wait_dscnt 0x0
	s_barrier_signal -1
	s_barrier_wait -1
	global_inv scope:SCOPE_SE
	ds_load_2addr_b32 v[63:64], v109 offset1:63
	ds_load_2addr_b32 v[61:62], v61 offset0:124 offset1:187
	ds_load_2addr_b32 v[89:90], v70 offset0:118 offset1:181
	;; [unrolled: 1-line block ×3, first 2 shown]
	v_add_nc_u32_e32 v65, 0x1200, v109
	v_add_nc_u32_e32 v72, 0x400, v109
	;; [unrolled: 1-line block ×5, first 2 shown]
	ds_load_2addr_b32 v[93:94], v65 offset0:108 offset1:171
	v_add_nc_u32_e32 v65, 0xe00, v109
	ds_load_2addr_b32 v[95:96], v72 offset0:122 offset1:185
	v_add_nc_u32_e32 v75, 0x1000, v109
	ds_load_2addr_b32 v[99:100], v73 offset0:116 offset1:179
	ds_load_2addr_b32 v[97:98], v65 offset0:112 offset1:175
	ds_load_2addr_b32 v[65:66], v109 offset0:126 offset1:189
	ds_load_2addr_b32 v[101:102], v74 offset0:106 offset1:169
	ds_load_2addr_b32 v[103:104], v76 offset0:120 offset1:183
	ds_load_2addr_b32 v[105:106], v75 offset0:110 offset1:173
	ds_load_b32 v142, v109 offset:6048
	global_wb scope:SCOPE_SE
	s_wait_dscnt 0x0
	s_barrier_signal -1
	v_lshrrev_b32_e32 v107, 16, v62
	v_lshrrev_b32_e32 v108, 16, v89
	;; [unrolled: 1-line block ×4, first 2 shown]
	v_mul_f16_e64 v169, v204, v89
	v_mul_f16_e64 v163, v207, v107
	;; [unrolled: 1-line block ×4, first 2 shown]
	v_lshrrev_b32_e32 v139, 16, v93
	v_mul_f16_e64 v171, v206, v92
	v_lshrrev_b32_e32 v145, 16, v95
	v_fmac_f16_e64 v163, v4, v62
	v_mul_f16_e64 v62, v207, v62
	v_fmac_f16_e64 v168, v5, v89
	v_lshrrev_b32_e32 v148, 16, v97
	v_fma_f16 v89, v5, v108, -v169
	v_fmac_f16_e64 v170, v6, v92
	v_fma_f16 v62, v4, v107, -v62
	v_fma_f16 v92, v6, v138, -v171
	v_mul_f16_e64 v107, v203, v139
	v_mul_f16_e64 v4, v203, v93
	;; [unrolled: 1-line block ×5, first 2 shown]
	v_lshrrev_b32_e32 v152, 16, v94
	v_lshrrev_b32_e32 v153, 16, v96
	v_fmac_f16_e32 v107, v7, v93
	v_fma_f16 v93, v7, v139, -v4
	v_fmac_f16_e32 v108, v0, v95
	v_fma_f16 v0, v0, v145, -v5
	v_fmac_f16_e64 v138, v1, v90
	v_mul_f16_e64 v4, v201, v90
	v_mul_f16_e64 v90, v202, v148
	;; [unrolled: 1-line block ×3, first 2 shown]
	v_lshrrev_b32_e32 v155, 16, v99
	v_lshrrev_b32_e32 v157, 16, v98
	;; [unrolled: 1-line block ×3, first 2 shown]
	v_mul_f16_e64 v95, v200, v152
	v_mul_f16_e64 v6, v200, v94
	v_fmac_f16_e32 v90, v2, v97
	v_fma_f16 v97, v2, v148, -v5
	v_mul_f16_e64 v139, v210, v153
	v_mul_f16_e64 v2, v210, v96
	v_lshrrev_b32_e32 v160, 16, v100
	v_fma_f16 v1, v1, v146, -v4
	v_fmac_f16_e32 v95, v3, v94
	v_fma_f16 v94, v3, v152, -v6
	v_mul_f16_e64 v145, v212, v155
	v_mul_f16_e64 v3, v212, v99
	;; [unrolled: 1-line block ×3, first 2 shown]
	v_fmac_f16_e64 v139, v16, v96
	v_fma_f16 v16, v16, v153, -v2
	v_mul_f16_e64 v2, v209, v98
	v_mul_f16_e64 v96, v211, v158
	v_lshrrev_b32_e32 v159, 16, v103
	v_lshrrev_b32_e32 v162, 16, v102
	v_fmac_f16_e64 v145, v17, v99
	v_fma_f16 v17, v17, v155, -v3
	v_fmac_f16_e64 v146, v18, v98
	v_mul_f16_e64 v3, v211, v101
	v_fma_f16 v18, v18, v157, -v2
	v_fmac_f16_e32 v96, v19, v101
	v_mul_f16_e64 v101, v215, v160
	v_mul_f16_e64 v2, v215, v100
	v_lshrrev_b32_e32 v161, 16, v105
	v_lshrrev_b32_e32 v165, 16, v91
	v_mul_f16_e64 v98, v217, v159
	v_mul_f16_e64 v148, v214, v162
	v_fmac_f16_e32 v101, v13, v100
	v_fma_f16 v100, v13, v160, -v2
	v_mul_f16_e64 v2, v214, v102
	v_lshrrev_b32_e32 v164, 16, v104
	v_lshrrev_b32_e32 v166, 16, v106
	;; [unrolled: 1-line block ×3, first 2 shown]
	v_mul_f16_e64 v4, v217, v103
	v_fma_f16 v19, v19, v158, -v3
	v_fmac_f16_e32 v98, v12, v103
	v_mul_f16_e64 v103, v216, v161
	v_mul_f16_e64 v3, v216, v105
	v_fmac_f16_e64 v148, v15, v102
	v_mul_f16_e64 v6, v221, v165
	v_fma_f16 v15, v15, v162, -v2
	v_add_f16_e64 v2, v168, v170
	v_add_f16_e64 v7, v63, v163
	v_fma_f16 v99, v12, v159, -v4
	v_fmac_f16_e32 v103, v14, v105
	v_fma_f16 v14, v14, v161, -v3
	v_mul_f16_e64 v12, v220, v164
	v_mul_f16_e64 v3, v220, v104
	;; [unrolled: 1-line block ×3, first 2 shown]
	v_fmac_f16_e32 v6, v9, v91
	v_mul_f16_e64 v13, v219, v166
	v_mul_f16_e64 v5, v219, v106
	;; [unrolled: 1-line block ×3, first 2 shown]
	v_fma_f16 v2, -0.5, v2, v63
	v_sub_f16_e32 v102, v62, v93
	v_add_f16_e64 v7, v7, v168
	v_lshrrev_b32_e32 v88, 16, v63
	v_fmac_f16_e32 v12, v8, v104
	v_fma_f16 v3, v8, v164, -v3
	v_fma_f16 v4, v9, v165, -v4
	v_fmac_f16_e32 v13, v10, v106
	v_fma_f16 v8, v10, v166, -v5
	v_fmac_f16_e64 v91, v11, v142
	v_fmamk_f16 v5, v102, 0xbb9c, v2
	v_sub_f16_e32 v104, v89, v92
	v_sub_f16_e64 v9, v163, v168
	v_sub_f16_e64 v10, v107, v170
	v_add_f16_e64 v105, v163, v107
	v_mul_f16_e64 v106, v218, v142
	v_add_f16_e64 v142, v7, v170
	v_fmac_f16_e32 v2, 0x3b9c, v102
	v_fmac_f16_e32 v5, 0xb8b4, v104
	v_add_f16_e64 v152, v9, v10
	v_fma_f16 v7, -0.5, v105, v63
	v_fma_f16 v11, v11, v167, -v106
	v_add_f16_e64 v9, v142, v107
	v_sub_f16_e64 v63, v168, v163
	v_sub_f16_e64 v105, v170, v107
	v_fmac_f16_e32 v2, 0x38b4, v104
	v_add_f16_e32 v106, v88, v62
	v_add_f16_e64 v142, v89, v92
	v_fmac_f16_e64 v5, 0x34f2, v152
	v_fmamk_f16 v10, v104, 0x3b9c, v7
	v_add_f16_e32 v63, v63, v105
	v_fmac_f16_e32 v7, 0xbb9c, v104
	v_add_f16_e32 v104, v106, v89
	v_fma_f16 v105, -0.5, v142, v88
	v_sub_f16_e64 v106, v163, v107
	v_fmac_f16_e64 v2, 0x34f2, v152
	v_add_f16_e32 v107, v62, v93
	v_sub_f16_e64 v152, v62, v89
	v_sub_f16_e32 v62, v89, v62
	v_sub_f16_e32 v89, v92, v93
	v_fmac_f16_e32 v10, 0xb8b4, v102
	v_fmac_f16_e32 v7, 0x38b4, v102
	v_add_f16_e32 v102, v104, v92
	v_fmamk_f16 v104, v106, 0x3b9c, v105
	v_sub_f16_e64 v142, v168, v170
	v_sub_f16_e64 v153, v93, v92
	v_fmac_f16_e32 v88, -0.5, v107
	v_fmac_f16_e32 v105, 0xbb9c, v106
	v_add_f16_e64 v92, v138, v90
	v_add_f16_e32 v62, v62, v89
	v_add_f16_e32 v89, v64, v108
	v_fmac_f16_e32 v10, 0x34f2, v63
	v_fmac_f16_e32 v7, 0x34f2, v63
	v_add_f16_e32 v63, v102, v93
	v_fmac_f16_e64 v104, 0x38b4, v142
	v_add_f16_e64 v102, v152, v153
	v_fma_f16 v107, 0xbb9c, v142, v88
	v_fmac_f16_e64 v105, 0xb8b4, v142
	v_fma_f16 v92, -0.5, v92, v64
	v_sub_f16_e32 v93, v0, v94
	v_fmac_f16_e64 v88, 0x3b9c, v142
	v_add_f16_e64 v89, v89, v138
	v_lshrrev_b32_e32 v86, 16, v64
	v_fmac_f16_e32 v104, 0x34f2, v102
	v_fmac_f16_e32 v107, 0x38b4, v106
	;; [unrolled: 1-line block ×3, first 2 shown]
	v_fmamk_f16 v102, v93, 0xbb9c, v92
	v_sub_f16_e64 v142, v1, v97
	v_sub_f16_e64 v152, v108, v138
	;; [unrolled: 1-line block ×3, first 2 shown]
	v_add_f16_e64 v155, v108, v95
	v_fmac_f16_e32 v88, 0xb8b4, v106
	v_add_f16_e32 v89, v89, v90
	v_fmac_f16_e32 v92, 0x3b9c, v93
	v_fmac_f16_e32 v107, 0x34f2, v62
	v_fmac_f16_e64 v102, 0xb8b4, v142
	v_add_f16_e64 v106, v152, v153
	v_fmac_f16_e64 v64, -0.5, v155
	v_fmac_f16_e32 v88, 0x34f2, v62
	v_add_f16_e64 v152, v89, v95
	v_sub_f16_e64 v62, v138, v108
	v_sub_f16_e32 v89, v90, v95
	v_fmac_f16_e64 v92, 0x38b4, v142
	v_add_f16_e64 v155, v86, v0
	v_fmac_f16_e32 v102, 0x34f2, v106
	v_fma_f16 v153, 0x3b9c, v142, v64
	v_add_f16_e64 v157, v1, v97
	v_add_f16_e32 v62, v62, v89
	v_fmac_f16_e64 v64, 0xbb9c, v142
	v_add_f16_e64 v89, v155, v1
	v_sub_f16_e32 v95, v108, v95
	v_fmac_f16_e32 v92, 0x34f2, v106
	v_add_f16_e32 v106, v0, v94
	v_sub_f16_e32 v108, v0, v1
	v_sub_f16_e32 v0, v1, v0
	;; [unrolled: 1-line block ×3, first 2 shown]
	v_fmac_f16_e64 v153, 0xb8b4, v93
	v_fma_f16 v142, -0.5, v157, v86
	v_fmac_f16_e32 v64, 0x38b4, v93
	v_sub_f16_e64 v90, v138, v90
	v_sub_f16_e64 v138, v94, v97
	v_fmac_f16_e32 v86, -0.5, v106
	v_add_f16_e32 v0, v0, v1
	v_add_f16_e64 v1, v65, v139
	v_fmac_f16_e64 v153, 0x34f2, v62
	v_add_f16_e32 v89, v89, v97
	v_fma_f16 v93, 0x3b9c, v95, v142
	v_fmac_f16_e32 v64, 0x34f2, v62
	v_add_f16_e64 v62, v108, v138
	v_fmac_f16_e64 v142, 0xbb9c, v95
	v_fmamk_f16 v108, v90, 0xbb9c, v86
	v_fmac_f16_e32 v86, 0x3b9c, v90
	v_add_f16_e64 v1, v1, v145
	v_lshrrev_b32_e32 v87, 16, v65
	v_add_f16_e32 v106, v89, v94
	v_fmac_f16_e32 v93, 0x38b4, v90
	v_add_f16_e64 v89, v145, v146
	v_fmac_f16_e64 v142, 0xb8b4, v90
	v_fmac_f16_e32 v108, 0x38b4, v95
	v_sub_f16_e64 v90, v139, v145
	v_sub_f16_e64 v138, v96, v146
	v_add_f16_e64 v155, v139, v96
	v_fmac_f16_e32 v86, 0xb8b4, v95
	v_add_f16_e64 v1, v1, v146
	v_fma_f16 v94, -0.5, v89, v65
	v_sub_f16_e32 v89, v16, v19
	v_fmac_f16_e32 v108, 0x34f2, v0
	v_add_f16_e64 v90, v90, v138
	v_fma_f16 v95, -0.5, v155, v65
	v_fmac_f16_e32 v86, 0x34f2, v0
	v_add_f16_e64 v138, v1, v96
	v_sub_f16_e64 v0, v145, v139
	v_sub_f16_e64 v1, v146, v96
	v_add_f16_e32 v65, v87, v16
	v_fmac_f16_e32 v93, 0x34f2, v62
	v_fmac_f16_e64 v142, 0x34f2, v62
	v_fmamk_f16 v97, v89, 0xbb9c, v94
	v_sub_f16_e32 v62, v17, v18
	v_fmac_f16_e32 v94, 0x3b9c, v89
	v_add_f16_e64 v157, v17, v18
	v_add_f16_e32 v0, v0, v1
	v_add_f16_e32 v1, v65, v17
	v_fmac_f16_e32 v97, 0xb8b4, v62
	v_fma_f16 v155, 0x3b9c, v62, v95
	v_fmac_f16_e32 v94, 0x38b4, v62
	v_fmac_f16_e32 v95, 0xbb9c, v62
	v_fma_f16 v157, -0.5, v157, v87
	v_sub_f16_e64 v62, v139, v96
	v_add_f16_e32 v1, v1, v18
	v_fmac_f16_e32 v97, 0x34f2, v90
	v_fmac_f16_e64 v155, 0xb8b4, v89
	v_fmac_f16_e32 v94, 0x34f2, v90
	v_fmac_f16_e32 v95, 0x38b4, v89
	v_fma_f16 v96, 0x3b9c, v62, v157
	v_add_f16_e32 v65, v16, v19
	v_sub_f16_e64 v89, v145, v146
	v_sub_f16_e32 v90, v16, v17
	v_sub_f16_e64 v139, v19, v18
	v_add_f16_e64 v145, v1, v19
	v_fmac_f16_e64 v157, 0xbb9c, v62
	v_sub_f16_e32 v1, v17, v16
	v_sub_f16_e32 v16, v18, v19
	v_fmac_f16_e64 v155, 0x34f2, v0
	v_fmac_f16_e32 v95, 0x34f2, v0
	v_fmac_f16_e32 v87, -0.5, v65
	v_fmac_f16_e32 v96, 0x38b4, v89
	v_add_f16_e64 v0, v90, v139
	v_fmac_f16_e64 v157, 0xb8b4, v89
	v_add_f16_e32 v1, v1, v16
	v_add_f16_e32 v16, v66, v98
	v_fma_f16 v139, 0xbb9c, v89, v87
	v_fmac_f16_e32 v96, 0x34f2, v0
	v_add_f16_e32 v17, v101, v103
	v_fmac_f16_e64 v157, 0x34f2, v0
	v_fmac_f16_e32 v87, 0x3b9c, v89
	v_add_f16_e32 v0, v16, v101
	v_lshrrev_b32_e32 v85, 16, v66
	v_fmac_f16_e64 v139, 0x38b4, v62
	v_fma_f16 v17, -0.5, v17, v66
	v_sub_f16_e32 v18, v99, v15
	v_sub_f16_e32 v65, v98, v101
	v_sub_f16_e64 v89, v148, v103
	v_fmac_f16_e32 v87, 0xb8b4, v62
	v_add_f16_e32 v0, v0, v103
	v_fmac_f16_e64 v139, 0x34f2, v1
	v_fmamk_f16 v16, v18, 0xbb9c, v17
	v_sub_f16_e32 v19, v100, v14
	v_add_f16_e64 v90, v98, v148
	v_add_f16_e32 v62, v65, v89
	v_fmac_f16_e32 v87, 0x34f2, v1
	v_add_f16_e64 v146, v0, v148
	v_fmac_f16_e32 v17, 0x3b9c, v18
	v_sub_f16_e32 v0, v101, v98
	v_sub_f16_e64 v1, v103, v148
	v_add_f16_e32 v65, v85, v99
	v_fmac_f16_e32 v16, 0xb8b4, v19
	v_fmac_f16_e32 v66, -0.5, v90
	v_fmac_f16_e32 v17, 0x38b4, v19
	v_add_f16_e32 v89, v100, v14
	v_add_f16_e32 v0, v0, v1
	;; [unrolled: 1-line block ×3, first 2 shown]
	v_fmac_f16_e32 v16, 0x34f2, v62
	v_fma_f16 v158, 0x3b9c, v19, v66
	v_fmac_f16_e32 v66, 0xbb9c, v19
	v_fma_f16 v19, -0.5, v89, v85
	v_sub_f16_e64 v65, v98, v148
	v_fmac_f16_e32 v17, 0x34f2, v62
	v_add_f16_e32 v1, v1, v14
	v_add_f16_e32 v62, v99, v15
	v_fmac_f16_e64 v158, 0xb8b4, v18
	v_fmac_f16_e32 v66, 0x38b4, v18
	v_fmamk_f16 v18, v65, 0x3b9c, v19
	v_sub_f16_e32 v89, v101, v103
	v_sub_f16_e32 v90, v99, v100
	v_sub_f16_e32 v98, v15, v14
	v_fmac_f16_e32 v85, -0.5, v62
	v_add_f16_e32 v101, v1, v15
	v_fmac_f16_e32 v19, 0xbb9c, v65
	v_sub_f16_e32 v1, v100, v99
	v_sub_f16_e32 v14, v14, v15
	v_add_f16_e32 v15, v6, v13
	v_fmac_f16_e64 v158, 0x34f2, v0
	v_fmac_f16_e32 v66, 0x34f2, v0
	v_fmac_f16_e32 v18, 0x38b4, v89
	v_add_f16_e32 v0, v90, v98
	v_fmamk_f16 v98, v89, 0xbb9c, v85
	v_fmac_f16_e32 v19, 0xb8b4, v89
	v_add_f16_e32 v1, v1, v14
	v_fmac_f16_e32 v85, 0x3b9c, v89
	v_add_f16_e32 v14, v61, v12
	v_fma_f16 v62, -0.5, v15, v61
	v_sub_f16_e32 v15, v3, v11
	v_fmac_f16_e32 v18, 0x34f2, v0
	v_fmac_f16_e32 v98, 0x38b4, v65
	;; [unrolled: 1-line block ×4, first 2 shown]
	v_add_f16_e32 v14, v14, v6
	v_fmamk_f16 v0, v15, 0xbb9c, v62
	v_sub_f16_e32 v65, v4, v8
	v_sub_f16_e32 v89, v12, v6
	;; [unrolled: 1-line block ×3, first 2 shown]
	v_fmac_f16_e32 v62, 0x3b9c, v15
	v_add_f16_e32 v99, v12, v91
	v_lshrrev_b32_e32 v69, 16, v61
	v_add_f16_e32 v14, v14, v13
	v_fmac_f16_e32 v0, 0xb8b4, v65
	v_add_f16_e32 v89, v89, v90
	v_fmac_f16_e32 v62, 0x38b4, v65
	v_fmac_f16_e32 v61, -0.5, v99
	v_fmac_f16_e32 v98, 0x34f2, v1
	v_fmac_f16_e32 v85, 0x34f2, v1
	v_add_f16_e32 v14, v14, v91
	v_fmac_f16_e32 v0, 0x34f2, v89
	v_fmac_f16_e32 v62, 0x34f2, v89
	v_fmamk_f16 v1, v65, 0x3b9c, v61
	v_add_f16_e32 v89, v4, v8
	v_sub_f16_e32 v90, v6, v12
	v_sub_f16_e32 v99, v13, v91
	v_fmac_f16_e32 v61, 0xbb9c, v65
	v_add_f16_e32 v65, v69, v3
	v_sub_f16_e32 v12, v12, v91
	v_add_f16_e32 v91, v3, v11
	v_fma_f16 v89, -0.5, v89, v69
	v_fmac_f16_e32 v1, 0xb8b4, v15
	v_add_f16_e32 v90, v90, v99
	v_fmac_f16_e32 v61, 0x38b4, v15
	v_add_f16_e32 v15, v65, v4
	v_sub_f16_e32 v6, v6, v13
	v_fmac_f16_e32 v69, -0.5, v91
	v_fmac_f16_e32 v1, 0x34f2, v90
	v_fmac_f16_e32 v61, 0x34f2, v90
	v_add_f16_e32 v13, v15, v8
	v_sub_f16_e32 v15, v3, v4
	v_fmamk_f16 v90, v6, 0xbb9c, v69
	v_sub_f16_e32 v3, v4, v3
	v_sub_f16_e32 v4, v8, v11
	v_fmac_f16_e32 v69, 0x3b9c, v6
	v_fmamk_f16 v65, v12, 0x3b9c, v89
	v_sub_f16_e32 v91, v11, v8
	v_fmac_f16_e32 v89, 0xbb9c, v12
	v_fmac_f16_e32 v90, 0x38b4, v12
	v_add_f16_e32 v3, v3, v4
	v_fmac_f16_e32 v69, 0xb8b4, v12
	v_fmac_f16_e32 v65, 0x38b4, v6
	v_add_f16_e32 v8, v15, v91
	v_fmac_f16_e32 v89, 0xb8b4, v6
	v_fmac_f16_e32 v90, 0x34f2, v3
	;; [unrolled: 1-line block ×3, first 2 shown]
	v_pack_b32_f16 v3, v9, v63
	v_pack_b32_f16 v5, v5, v104
	;; [unrolled: 1-line block ×5, first 2 shown]
	v_fmac_f16_e32 v65, 0x34f2, v8
	v_fmac_f16_e32 v89, 0x34f2, v8
	v_pack_b32_f16 v8, v152, v106
	v_pack_b32_f16 v9, v102, v93
	v_add_f16_e32 v4, v13, v11
	v_pack_b32_f16 v10, v153, v108
	v_pack_b32_f16 v11, v64, v86
	s_barrier_wait -1
	global_inv scope:SCOPE_SE
	ds_store_2addr_b32 v177, v3, v5 offset1:9
	ds_store_2addr_b32 v177, v6, v7 offset0:18 offset1:27
	ds_store_b32 v177, v2 offset:144
	ds_store_2addr_b32 v195, v8, v9 offset1:9
	ds_store_2addr_b32 v195, v10, v11 offset0:18 offset1:27
	v_pack_b32_f16 v2, v92, v142
	v_pack_b32_f16 v3, v138, v145
	;; [unrolled: 1-line block ×8, first 2 shown]
	ds_store_b32 v195, v2 offset:144
	ds_store_2addr_b32 v197, v3, v5 offset1:9
	ds_store_2addr_b32 v197, v6, v7 offset0:18 offset1:27
	ds_store_b32 v197, v8 offset:144
	ds_store_2addr_b32 v198, v9, v10 offset1:9
	v_pack_b32_f16 v2, v158, v98
	v_pack_b32_f16 v3, v66, v85
	;; [unrolled: 1-line block ×8, first 2 shown]
	ds_store_2addr_b32 v198, v2, v3 offset0:18 offset1:27
	ds_store_b32 v198, v5 offset:144
	ds_store_2addr_b32 v199, v4, v6 offset1:9
	ds_store_2addr_b32 v199, v7, v8 offset0:18 offset1:27
	ds_store_b32 v199, v9 offset:144
	global_wb scope:SCOPE_SE
	s_wait_dscnt 0x0
	s_barrier_signal -1
	s_barrier_wait -1
	global_inv scope:SCOPE_SE
	ds_load_2addr_b32 v[4:5], v109 offset1:63
	ds_load_2addr_b32 v[2:3], v109 offset0:126 offset1:225
	ds_load_2addr_b32 v[63:64], v76 offset0:66 offset1:129
	;; [unrolled: 1-line block ×9, first 2 shown]
	ds_load_b32 v66, v109 offset:5904
	s_and_saveexec_b32 s1, s0
	s_cbranch_execz .LBB0_27
; %bb.26:
	v_add_nc_u32_e32 v0, 0x280, v109
	v_add_nc_u32_e32 v59, 0x9c0, v109
	;; [unrolled: 1-line block ×3, first 2 shown]
	ds_load_2addr_b32 v[0:1], v0 offset0:29 offset1:254
	ds_load_2addr_b32 v[61:62], v59 offset0:15 offset1:240
	;; [unrolled: 1-line block ×3, first 2 shown]
	ds_load_b32 v237, v109 offset:6156
	s_wait_dscnt 0x3
	v_lshrrev_b32_e32 v65, 16, v0
	v_lshrrev_b32_e32 v90, 16, v1
	s_wait_dscnt 0x2
	v_lshrrev_b32_e32 v69, 16, v61
	v_lshrrev_b32_e32 v89, 16, v62
	;; [unrolled: 3-line block ×3, first 2 shown]
	s_wait_dscnt 0x0
	v_lshrrev_b32_e32 v239, 16, v237
.LBB0_27:
	s_wait_alu 0xfffe
	s_or_b32 exec_lo, exec_lo, s1
	s_wait_dscnt 0x9
	v_lshrrev_b32_e32 v71, 16, v3
	s_wait_dscnt 0x8
	v_lshrrev_b32_e32 v72, 16, v63
	;; [unrolled: 2-line block ×5, first 2 shown]
	v_mul_f16_e64 v97, v232, v71
	v_mul_f16_e64 v102, v233, v72
	;; [unrolled: 1-line block ×5, first 2 shown]
	v_fmac_f16_e32 v97, v32, v3
	v_mul_f16_e64 v3, v232, v3
	s_wait_dscnt 0x3
	v_lshrrev_b32_e32 v86, 16, v14
	v_lshrrev_b32_e32 v87, 16, v64
	v_fmac_f16_e32 v102, v33, v63
	v_fmac_f16_e32 v104, v34, v11
	v_fma_f16 v3, v32, v71, -v3
	v_fma_f16 v32, v33, v72, -v103
	;; [unrolled: 1-line block ×3, first 2 shown]
	v_mul_f16_e64 v33, v234, v74
	v_mul_f16_e64 v34, v234, v18
	;; [unrolled: 1-line block ×4, first 2 shown]
	v_lshrrev_b32_e32 v76, 16, v16
	s_wait_dscnt 0x2
	v_lshrrev_b32_e32 v88, 16, v12
	v_lshrrev_b32_e32 v91, 16, v19
	v_fmac_f16_e32 v33, v35, v18
	v_fma_f16 v18, v35, v74, -v34
	v_fmac_f16_e32 v63, v79, v9
	v_fma_f16 v9, v79, v75, -v71
	v_mul_f16_e64 v34, v242, v86
	v_mul_f16_e64 v35, v242, v14
	;; [unrolled: 1-line block ×4, first 2 shown]
	v_lshrrev_b32_e32 v93, 16, v17
	v_lshrrev_b32_e32 v95, 16, v15
	v_mul_f16_e64 v72, v228, v76
	v_fmac_f16_e32 v34, v40, v14
	v_fma_f16 v14, v40, v86, -v35
	v_fmac_f16_e32 v71, v41, v64
	v_fma_f16 v35, v41, v87, -v73
	v_mul_f16_e64 v40, v243, v88
	v_mul_f16_e64 v41, v243, v12
	;; [unrolled: 1-line block ×4, first 2 shown]
	v_lshrrev_b32_e32 v96, 16, v10
	v_lshrrev_b32_e32 v98, 16, v13
	;; [unrolled: 1-line block ×3, first 2 shown]
	v_fmac_f16_e32 v72, v80, v16
	v_mul_f16_e64 v16, v228, v16
	v_fmac_f16_e32 v40, v42, v12
	v_fma_f16 v12, v42, v88, -v41
	v_fmac_f16_e32 v64, v43, v19
	v_fma_f16 v19, v43, v91, -v73
	v_mul_f16_e64 v41, v236, v93
	v_mul_f16_e64 v42, v236, v17
	;; [unrolled: 1-line block ×4, first 2 shown]
	s_wait_dscnt 0x1
	v_lshrrev_b32_e32 v100, 16, v7
	s_wait_dscnt 0x0
	v_lshrrev_b32_e32 v101, 16, v66
	v_fma_f16 v16, v80, v76, -v16
	v_fmac_f16_e32 v41, v84, v17
	v_fma_f16 v17, v84, v93, -v42
	v_fmac_f16_e32 v43, v36, v15
	v_fma_f16 v15, v36, v95, -v73
	v_mul_f16_e64 v36, v247, v96
	v_mul_f16_e64 v42, v247, v10
	;; [unrolled: 1-line block ×5, first 2 shown]
	v_lshrrev_b32_e32 v92, 16, v6
	v_fmac_f16_e32 v36, v37, v10
	v_fma_f16 v10, v37, v96, -v42
	v_fmac_f16_e32 v73, v38, v13
	v_fma_f16 v13, v38, v98, -v75
	v_fmac_f16_e32 v76, v39, v8
	v_mul_f16_e64 v8, v244, v8
	v_mul_f16_e64 v37, v245, v100
	;; [unrolled: 1-line block ×6, first 2 shown]
	v_fma_f16 v8, v39, v99, -v8
	v_fmac_f16_e32 v37, v81, v7
	v_fma_f16 v7, v81, v100, -v38
	v_fmac_f16_e32 v42, v82, v66
	v_fma_f16 v38, v82, v101, -v75
	v_add_f16_e32 v39, v97, v72
	v_add_f16_e32 v66, v3, v16
	v_sub_f16_e32 v3, v3, v16
	v_add_f16_e32 v16, v102, v63
	v_add_f16_e32 v75, v32, v9
	v_fmac_f16_e32 v74, v83, v6
	v_mul_f16_e64 v6, v241, v6
	v_sub_f16_e32 v72, v97, v72
	v_sub_f16_e32 v63, v102, v63
	v_sub_f16_e32 v9, v32, v9
	v_add_f16_e32 v32, v104, v33
	v_add_f16_e32 v79, v11, v18
	v_sub_f16_e32 v33, v33, v104
	v_sub_f16_e32 v11, v18, v11
	v_add_f16_e32 v18, v16, v39
	v_add_f16_e32 v80, v75, v66
	v_lshrrev_b32_e32 v70, 16, v4
	v_fma_f16 v6, v83, v92, -v6
	v_sub_f16_e32 v81, v16, v39
	v_sub_f16_e32 v82, v75, v66
	;; [unrolled: 1-line block ×6, first 2 shown]
	v_add_f16_e32 v83, v33, v63
	v_add_f16_e32 v84, v11, v9
	v_sub_f16_e32 v86, v33, v63
	v_sub_f16_e32 v87, v11, v9
	;; [unrolled: 1-line block ×3, first 2 shown]
	v_add_f16_e32 v18, v32, v18
	v_add_f16_e32 v32, v79, v80
	v_sub_f16_e32 v9, v9, v3
	v_sub_f16_e32 v33, v72, v33
	;; [unrolled: 1-line block ×3, first 2 shown]
	v_add_f16_e32 v72, v83, v72
	v_add_f16_e32 v3, v84, v3
	;; [unrolled: 1-line block ×4, first 2 shown]
	v_mul_f16_e32 v39, 0x3a52, v39
	v_mul_f16_e32 v66, 0x3a52, v66
	;; [unrolled: 1-line block ×8, first 2 shown]
	v_fmamk_f16 v18, v18, 0xbcab, v4
	v_fmamk_f16 v32, v32, 0xbcab, v70
	;; [unrolled: 1-line block ×4, first 2 shown]
	v_fma_f16 v79, v81, 0x39e0, -v79
	v_fma_f16 v80, v82, 0x39e0, -v80
	v_fma_f16 v39, v81, 0xb9e0, -v39
	v_fma_f16 v66, v82, 0xb9e0, -v66
	v_fmamk_f16 v81, v33, 0xb574, v83
	v_fmamk_f16 v82, v11, 0xb574, v84
	v_fma_f16 v33, v33, 0x3574, -v86
	v_fma_f16 v11, v11, 0x3574, -v87
	;; [unrolled: 1-line block ×3, first 2 shown]
	v_add_f16_e32 v16, v16, v18
	v_add_f16_e32 v75, v75, v32
	;; [unrolled: 1-line block ×6, first 2 shown]
	v_fmac_f16_e32 v81, 0xb70e, v72
	v_fmac_f16_e32 v11, 0xb70e, v3
	;; [unrolled: 1-line block ×3, first 2 shown]
	v_fma_f16 v9, v9, 0xbb00, -v84
	v_fmac_f16_e32 v63, 0xb70e, v72
	v_sub_f16_e32 v39, v75, v81
	v_add_f16_e32 v66, v11, v18
	v_sub_f16_e32 v72, v32, v33
	v_sub_f16_e32 v11, v18, v11
	v_add_f16_e32 v18, v33, v32
	v_add_f16_e32 v32, v81, v75
	;; [unrolled: 1-line block ×4, first 2 shown]
	v_sub_f16_e32 v34, v34, v41
	v_sub_f16_e32 v14, v14, v17
	v_add_f16_e32 v17, v71, v74
	v_add_f16_e32 v41, v35, v6
	v_fmac_f16_e32 v82, 0xb70e, v3
	v_fmac_f16_e32 v9, 0xb70e, v3
	v_sub_f16_e32 v71, v71, v74
	v_sub_f16_e32 v6, v35, v6
	v_add_f16_e32 v35, v40, v64
	v_add_f16_e32 v74, v12, v19
	v_sub_f16_e32 v40, v64, v40
	v_sub_f16_e32 v12, v19, v12
	v_add_f16_e32 v19, v17, v33
	v_add_f16_e32 v64, v41, v75
	v_lshrrev_b32_e32 v85, 16, v5
	v_add_f16_e32 v3, v82, v16
	v_sub_f16_e32 v83, v79, v9
	v_add_f16_e32 v84, v63, v80
	v_add_f16_e32 v9, v9, v79
	v_sub_f16_e32 v63, v80, v63
	v_sub_f16_e32 v16, v16, v82
	;; [unrolled: 1-line block ×8, first 2 shown]
	v_add_f16_e32 v81, v40, v71
	v_add_f16_e32 v82, v12, v6
	v_sub_f16_e32 v86, v40, v71
	v_sub_f16_e32 v87, v12, v6
	;; [unrolled: 1-line block ×3, first 2 shown]
	v_add_f16_e32 v19, v35, v19
	v_add_f16_e32 v35, v74, v64
	v_sub_f16_e32 v6, v6, v14
	v_sub_f16_e32 v40, v34, v40
	;; [unrolled: 1-line block ×3, first 2 shown]
	v_add_f16_e32 v34, v81, v34
	v_add_f16_e32 v14, v82, v14
	;; [unrolled: 1-line block ×4, first 2 shown]
	v_mul_f16_e32 v33, 0x3a52, v33
	v_mul_f16_e32 v74, 0x3a52, v75
	;; [unrolled: 1-line block ×8, first 2 shown]
	v_fmamk_f16 v19, v19, 0xbcab, v5
	v_fmamk_f16 v35, v35, 0xbcab, v64
	;; [unrolled: 1-line block ×4, first 2 shown]
	v_fma_f16 v75, v79, 0x39e0, -v75
	v_fma_f16 v81, v80, 0x39e0, -v81
	;; [unrolled: 1-line block ×4, first 2 shown]
	v_fmamk_f16 v79, v40, 0xb574, v82
	v_fmamk_f16 v80, v12, 0xb574, v85
	v_fma_f16 v40, v40, 0x3574, -v86
	v_fma_f16 v12, v12, 0x3574, -v87
	;; [unrolled: 1-line block ×4, first 2 shown]
	v_add_f16_e32 v17, v17, v19
	v_add_f16_e32 v41, v41, v35
	v_add_f16_e32 v75, v75, v19
	v_add_f16_e32 v19, v33, v19
	v_add_f16_e32 v33, v74, v35
	v_fmac_f16_e32 v79, 0xb70e, v34
	v_fmac_f16_e32 v12, 0xb70e, v14
	;; [unrolled: 1-line block ×3, first 2 shown]
	v_add_f16_e32 v81, v81, v35
	v_fmac_f16_e32 v71, 0xb70e, v34
	v_fmac_f16_e32 v6, 0xb70e, v14
	v_sub_f16_e32 v34, v41, v79
	v_add_f16_e32 v35, v12, v19
	v_sub_f16_e32 v74, v33, v40
	v_sub_f16_e32 v12, v19, v12
	v_add_f16_e32 v19, v40, v33
	v_add_f16_e32 v33, v79, v41
	;; [unrolled: 1-line block ×4, first 2 shown]
	v_sub_f16_e32 v42, v43, v42
	v_sub_f16_e32 v15, v15, v38
	v_add_f16_e32 v38, v36, v37
	v_add_f16_e32 v43, v10, v7
	v_fmac_f16_e32 v80, 0xb70e, v14
	v_sub_f16_e32 v82, v75, v6
	v_add_f16_e32 v6, v6, v75
	v_sub_f16_e32 v36, v36, v37
	v_sub_f16_e32 v7, v10, v7
	v_add_f16_e32 v10, v73, v76
	v_add_f16_e32 v37, v13, v8
	v_sub_f16_e32 v73, v76, v73
	v_sub_f16_e32 v8, v8, v13
	v_add_f16_e32 v13, v38, v40
	v_add_f16_e32 v75, v43, v41
	v_lshrrev_b32_e32 v94, 16, v2
	v_add_f16_e32 v14, v80, v17
	v_add_f16_e32 v85, v71, v81
	v_sub_f16_e32 v71, v81, v71
	v_sub_f16_e32 v17, v17, v80
	;; [unrolled: 1-line block ×8, first 2 shown]
	v_add_f16_e32 v80, v73, v36
	v_add_f16_e32 v81, v8, v7
	v_sub_f16_e32 v86, v73, v36
	v_sub_f16_e32 v87, v8, v7
	;; [unrolled: 1-line block ×3, first 2 shown]
	v_add_f16_e32 v10, v10, v13
	v_add_f16_e32 v13, v37, v75
	v_sub_f16_e32 v7, v7, v15
	v_sub_f16_e32 v73, v42, v73
	;; [unrolled: 1-line block ×3, first 2 shown]
	v_add_f16_e32 v37, v80, v42
	v_add_f16_e32 v15, v81, v15
	;; [unrolled: 1-line block ×4, first 2 shown]
	v_mul_f16_e32 v40, 0x3a52, v40
	v_mul_f16_e32 v41, 0x3a52, v41
	;; [unrolled: 1-line block ×8, first 2 shown]
	v_fmamk_f16 v10, v10, 0xbcab, v2
	v_fmamk_f16 v13, v13, 0xbcab, v42
	;; [unrolled: 1-line block ×4, first 2 shown]
	v_fma_f16 v75, v76, 0x39e0, -v75
	v_fma_f16 v80, v79, 0x39e0, -v80
	;; [unrolled: 1-line block ×4, first 2 shown]
	v_fmamk_f16 v76, v73, 0xb574, v81
	v_fmamk_f16 v79, v8, 0xb574, v86
	v_fma_f16 v73, v73, 0x3574, -v87
	v_fma_f16 v8, v8, 0x3574, -v88
	v_fma_f16 v36, v36, 0xbb00, -v81
	v_fma_f16 v7, v7, 0xbb00, -v86
	v_add_f16_e32 v38, v38, v10
	v_add_f16_e32 v43, v43, v13
	;; [unrolled: 1-line block ×6, first 2 shown]
	v_fmac_f16_e32 v76, 0xb70e, v37
	v_fmac_f16_e32 v79, 0xb70e, v15
	;; [unrolled: 1-line block ×4, first 2 shown]
	v_pack_b32_f16 v4, v4, v70
	v_pack_b32_f16 v3, v3, v39
	v_fmac_f16_e32 v36, 0xb70e, v37
	v_fmac_f16_e32 v7, 0xb70e, v15
	v_add_f16_e32 v15, v79, v38
	v_sub_f16_e32 v37, v43, v76
	v_add_f16_e32 v40, v8, v10
	v_sub_f16_e32 v41, v13, v73
	v_sub_f16_e32 v8, v10, v8
	v_add_f16_e32 v10, v73, v13
	v_sub_f16_e32 v13, v38, v79
	v_add_f16_e32 v38, v76, v43
	v_pack_b32_f16 v39, v66, v72
	v_pack_b32_f16 v43, v83, v84
	global_wb scope:SCOPE_SE
	s_barrier_signal -1
	s_barrier_wait -1
	global_inv scope:SCOPE_SE
	ds_store_2addr_b32 v213, v4, v3 offset1:45
	ds_store_2addr_b32 v213, v39, v43 offset0:90 offset1:135
	v_pack_b32_f16 v3, v9, v63
	v_pack_b32_f16 v4, v11, v18
	;; [unrolled: 1-line block ×3, first 2 shown]
	v_sub_f16_e32 v81, v75, v7
	v_add_f16_e32 v86, v36, v80
	v_pack_b32_f16 v5, v5, v64
	v_pack_b32_f16 v11, v14, v34
	v_add_f16_e32 v7, v7, v75
	v_sub_f16_e32 v36, v80, v36
	v_pack_b32_f16 v14, v35, v74
	v_pack_b32_f16 v16, v82, v85
	;; [unrolled: 1-line block ×4, first 2 shown]
	ds_store_2addr_b32 v213, v3, v4 offset0:180 offset1:225
	ds_store_b32 v213, v9 offset:1080
	ds_store_2addr_b32 v222, v5, v11 offset1:45
	ds_store_2addr_b32 v222, v14, v16 offset0:90 offset1:135
	ds_store_2addr_b32 v222, v6, v12 offset0:180 offset1:225
	v_pack_b32_f16 v3, v17, v33
	v_pack_b32_f16 v2, v2, v42
	;; [unrolled: 1-line block ×8, first 2 shown]
	ds_store_b32 v222, v3 offset:1080
	ds_store_2addr_b32 v223, v2, v4 offset1:45
	ds_store_2addr_b32 v223, v5, v6 offset0:90 offset1:135
	ds_store_2addr_b32 v223, v7, v8 offset0:180 offset1:225
	ds_store_b32 v223, v9 offset:1080
	s_and_saveexec_b32 s1, s0
	s_cbranch_execz .LBB0_29
; %bb.28:
	v_lshrrev_b32_e32 v13, 16, v20
	v_lshrrev_b32_e32 v15, 16, v21
	;; [unrolled: 1-line block ×5, first 2 shown]
	v_mul_f16_e32 v2, v13, v90
	v_lshrrev_b32_e32 v16, 16, v22
	v_mul_f16_e32 v5, v15, v69
	v_mul_f16_e32 v6, v14, v67
	v_mul_f16_e64 v7, v10, v239
	v_fmac_f16_e32 v2, v20, v1
	v_mul_f16_e64 v10, v10, v237
	v_mul_f16_e32 v1, v13, v1
	v_mul_f16_e32 v14, v14, v60
	;; [unrolled: 1-line block ×5, first 2 shown]
	v_fma_f16 v10, v78, v239, -v10
	v_fma_f16 v1, v20, v90, -v1
	v_mul_f16_e32 v16, v16, v62
	v_mul_f16_e32 v17, v17, v59
	v_fma_f16 v14, v77, v67, -v14
	v_fma_f16 v15, v21, v69, -v15
	v_fmac_f16_e32 v5, v21, v61
	v_fmac_f16_e32 v6, v77, v60
	v_fmac_f16_e64 v7, v78, v237
	v_add_f16_e32 v18, v10, v1
	v_fma_f16 v16, v22, v89, -v16
	v_fma_f16 v17, v23, v68, -v17
	v_add_f16_e32 v19, v14, v15
	v_fmac_f16_e32 v3, v23, v59
	v_fmac_f16_e32 v4, v22, v62
	v_sub_f16_e32 v9, v5, v6
	v_sub_f16_e32 v11, v2, v7
	v_add_f16_e32 v21, v16, v17
	v_add_f16_e32 v22, v19, v18
	;; [unrolled: 1-line block ×4, first 2 shown]
	v_sub_f16_e32 v8, v3, v4
	v_sub_f16_e32 v23, v18, v21
	v_add_f16_e32 v22, v21, v22
	v_sub_f16_e32 v6, v21, v19
	v_add_f16_e32 v3, v4, v3
	v_add_f16_e32 v21, v5, v2
	v_sub_f16_e32 v16, v17, v16
	v_sub_f16_e32 v14, v15, v14
	;; [unrolled: 1-line block ×4, first 2 shown]
	v_add_f16_e32 v21, v3, v21
	v_sub_f16_e32 v3, v3, v5
	v_sub_f16_e32 v1, v1, v10
	;; [unrolled: 1-line block ×3, first 2 shown]
	v_mul_f16_e32 v15, 0x3a52, v32
	v_add_f16_e32 v0, v0, v21
	v_sub_f16_e32 v13, v11, v8
	v_mul_f16_e32 v12, 0x3846, v12
	v_add_f16_e32 v8, v8, v9
	v_mul_f16_e32 v7, 0x3a52, v23
	v_add_f16_e32 v4, v65, v22
	v_mul_f16_e32 v23, 0x2b26, v6
	v_fmamk_f16 v17, v3, 0x2b26, v15
	v_fmamk_f16 v21, v21, 0xbcab, v0
	v_sub_f16_e32 v32, v1, v16
	v_mul_f16_e32 v10, 0x3846, v10
	v_sub_f16_e32 v9, v9, v11
	v_add_f16_e32 v16, v16, v14
	v_sub_f16_e32 v18, v19, v18
	v_sub_f16_e32 v2, v5, v2
	;; [unrolled: 1-line block ×3, first 2 shown]
	v_add_f16_e32 v8, v8, v11
	v_fmamk_f16 v22, v22, 0xbcab, v4
	v_mul_f16_e32 v3, 0x2b26, v3
	v_add_f16_e32 v11, v17, v21
	v_fmamk_f16 v17, v32, 0xb574, v10
	v_mul_f16_e32 v34, 0xbb00, v9
	v_add_f16_e32 v1, v16, v1
	v_fma_f16 v14, v2, 0xb9e0, -v15
	v_mul_f16_e32 v15, 0xbb00, v5
	v_fma_f16 v16, v18, 0x39e0, -v23
	v_fma_f16 v9, v9, 0xbb00, -v12
	v_fmac_f16_e32 v17, 0xb70e, v1
	v_fma_f16 v5, v5, 0xbb00, -v10
	v_fma_f16 v15, v32, 0x3574, -v15
	;; [unrolled: 1-line block ×3, first 2 shown]
	v_add_f16_e32 v3, v16, v22
	v_fmac_f16_e32 v9, 0xb70e, v8
	v_fmamk_f16 v20, v13, 0xb574, v12
	v_fmac_f16_e32 v15, 0xb70e, v1
	v_fmac_f16_e32 v5, 0xb70e, v1
	v_add_f16_e32 v1, v2, v21
	v_sub_f16_e32 v2, v11, v17
	v_sub_f16_e32 v12, v3, v9
	v_add_f16_e32 v3, v9, v3
	v_add_f16_e32 v9, v17, v11
	scratch_load_b32 v11, off, off offset:68 th:TH_LOAD_LU ; 4-byte Folded Reload
	v_fmamk_f16 v6, v6, 0x2b26, v7
	v_fma_f16 v13, v13, 0x3574, -v34
	v_fma_f16 v7, v18, 0xb9e0, -v7
	v_fmac_f16_e32 v20, 0xb70e, v8
	v_add_f16_e32 v14, v14, v21
	v_add_f16_e32 v6, v6, v22
	v_fmac_f16_e32 v13, 0xb70e, v8
	v_add_f16_e32 v7, v7, v22
	v_add_f16_e32 v16, v5, v1
	v_sub_f16_e32 v1, v1, v5
	v_add_f16_e32 v33, v20, v6
	v_sub_f16_e32 v6, v6, v20
	;; [unrolled: 2-line block ×4, first 2 shown]
	v_pack_b32_f16 v0, v0, v4
	v_pack_b32_f16 v4, v9, v6
	;; [unrolled: 1-line block ×7, first 2 shown]
	s_wait_loadcnt 0x0
	v_lshlrev_b32_e32 v11, 2, v11
	s_delay_alu instid0(VALU_DEP_1)
	v_add_nc_u32_e32 v5, 0x1200, v11
	v_add_nc_u32_e32 v3, 0x1400, v11
	ds_store_2addr_b32 v5, v0, v4 offset0:108 offset1:153
	ds_store_2addr_b32 v3, v6, v1 offset0:70 offset1:115
	ds_store_2addr_b32 v3, v7, v8 offset0:160 offset1:205
	ds_store_b32 v11, v2 offset:6120
.LBB0_29:
	s_wait_alu 0xfffe
	s_or_b32 exec_lo, exec_lo, s1
	v_add_nc_u32_e32 v9, 0x200, v109
	v_add_nc_u32_e32 v11, 0x800, v109
	;; [unrolled: 1-line block ×3, first 2 shown]
	global_wb scope:SCOPE_SE
	s_wait_dscnt 0x0
	s_barrier_signal -1
	s_barrier_wait -1
	global_inv scope:SCOPE_SE
	ds_load_2addr_b32 v[2:3], v109 offset1:63
	ds_load_2addr_b32 v[0:1], v9 offset0:124 offset1:187
	ds_load_2addr_b32 v[19:20], v11 offset0:118 offset1:181
	;; [unrolled: 1-line block ×3, first 2 shown]
	v_add_nc_u32_e32 v4, 0x1200, v109
	v_add_nc_u32_e32 v8, 0x400, v109
	v_add_nc_u32_e32 v13, 0xe00, v109
	v_add_nc_u32_e32 v10, 0xa00, v109
	v_add_nc_u32_e32 v6, 0x1400, v109
	ds_load_2addr_b32 v[32:33], v4 offset0:108 offset1:171
	ds_load_2addr_b32 v[34:35], v8 offset0:122 offset1:185
	;; [unrolled: 1-line block ×3, first 2 shown]
	v_add_nc_u32_e32 v12, 0x600, v109
	ds_load_2addr_b32 v[38:39], v10 offset0:116 offset1:179
	v_add_nc_u32_e32 v10, 0x1000, v109
	ds_load_2addr_b32 v[4:5], v109 offset0:126 offset1:189
	ds_load_2addr_b32 v[40:41], v6 offset0:106 offset1:169
	;; [unrolled: 1-line block ×4, first 2 shown]
	ds_load_b32 v64, v109 offset:6048
	s_mov_b32 s10, 0xae67b348
	s_mov_b32 s11, 0x3f44ce19
	s_wait_dscnt 0xb
	v_lshrrev_b32_e32 v21, 16, v1
	s_wait_dscnt 0xa
	v_lshrrev_b32_e32 v61, 16, v19
	;; [unrolled: 2-line block ×3, first 2 shown]
	v_mul_f16_e64 v83, v255, v19
	v_mul_f16_e64 v85, v172, v23
	v_mul_f16_e32 v77, v112, v21
	v_mul_f16_e64 v82, v255, v61
	v_lshrrev_b32_e32 v66, 16, v20
	s_wait_dscnt 0x8
	v_lshrrev_b32_e32 v63, 16, v32
	s_wait_dscnt 0x7
	v_lshrrev_b32_e32 v65, 16, v34
	v_fmac_f16_e32 v77, v24, v1
	v_mul_f16_e32 v1, v112, v1
	v_lshrrev_b32_e32 v68, 16, v33
	v_mul_f16_e64 v84, v172, v62
	v_fmac_f16_e32 v82, v25, v19
	v_fma_f16 v61, v25, v61, -v83
	v_fma_f16 v86, v24, v21, -v1
	;; [unrolled: 1-line block ×3, first 2 shown]
	v_mul_f16_e64 v83, v253, v63
	v_mul_f16_e64 v1, v253, v32
	;; [unrolled: 1-line block ×4, first 2 shown]
	s_wait_dscnt 0x6
	v_lshrrev_b32_e32 v67, 16, v36
	v_lshrrev_b32_e32 v69, 16, v35
	v_mul_f16_e64 v87, v252, v66
	v_fmac_f16_e32 v83, v27, v32
	v_fma_f16 v32, v27, v63, -v1
	v_fmac_f16_e32 v85, v28, v34
	v_fma_f16 v34, v28, v65, -v19
	v_mul_f16_e64 v1, v252, v20
	v_mul_f16_e64 v65, v250, v68
	s_wait_dscnt 0x5
	v_lshrrev_b32_e32 v70, 16, v38
	v_lshrrev_b32_e32 v71, 16, v37
	s_wait_dscnt 0x2
	v_lshrrev_b32_e32 v73, 16, v42
	v_fmac_f16_e32 v87, v29, v20
	v_mul_f16_e64 v63, v251, v67
	v_mul_f16_e64 v19, v251, v36
	;; [unrolled: 1-line block ×3, first 2 shown]
	v_fma_f16 v29, v29, v66, -v1
	v_fmac_f16_e32 v65, v31, v33
	v_mul_f16_e32 v33, v115, v69
	v_mul_f16_e32 v1, v115, v35
	v_lshrrev_b32_e32 v72, 16, v40
	v_lshrrev_b32_e32 v74, 16, v39
	v_fmac_f16_e32 v63, v30, v36
	v_fma_f16 v30, v30, v67, -v19
	v_fma_f16 v31, v31, v68, -v20
	v_mul_f16_e32 v36, v120, v70
	v_mul_f16_e32 v19, v120, v38
	;; [unrolled: 1-line block ×3, first 2 shown]
	v_fmac_f16_e32 v33, v48, v35
	v_fma_f16 v35, v48, v69, -v1
	v_mul_f16_e32 v1, v114, v37
	v_mul_f16_e32 v48, v127, v73
	;; [unrolled: 1-line block ×3, first 2 shown]
	v_lshrrev_b32_e32 v76, 16, v41
	v_fmac_f16_e32 v36, v49, v38
	v_fma_f16 v38, v49, v70, -v19
	v_fmac_f16_e32 v66, v50, v37
	v_mul_f16_e32 v37, v117, v72
	v_mul_f16_e32 v19, v117, v40
	v_fma_f16 v49, v50, v71, -v1
	v_fmac_f16_e32 v48, v44, v42
	v_fma_f16 v42, v44, v73, -v20
	v_mul_f16_e32 v44, v123, v74
	v_mul_f16_e32 v1, v123, v39
	s_wait_dscnt 0x1
	v_lshrrev_b32_e32 v75, 16, v59
	v_lshrrev_b32_e32 v78, 16, v43
	;; [unrolled: 1-line block ×3, first 2 shown]
	v_fmac_f16_e32 v84, v26, v23
	v_fmac_f16_e32 v37, v51, v40
	v_fma_f16 v40, v51, v72, -v19
	v_mul_f16_e32 v19, v126, v59
	v_mul_f16_e32 v51, v121, v76
	v_fmac_f16_e32 v44, v45, v39
	v_fma_f16 v39, v45, v74, -v1
	v_mul_f16_e32 v1, v121, v41
	v_lshrrev_b32_e32 v80, 16, v60
	s_wait_dscnt 0x0
	v_lshrrev_b32_e32 v81, 16, v64
	v_mul_f16_e32 v50, v126, v75
	v_fma_f16 v45, v46, v75, -v19
	v_fmac_f16_e32 v51, v47, v41
	v_mul_f16_e64 v23, v133, v78
	v_mul_f16_e64 v19, v133, v43
	;; [unrolled: 1-line block ×4, first 2 shown]
	v_fma_f16 v41, v47, v76, -v1
	v_add_f16_e32 v1, v82, v84
	v_lshrrev_b32_e32 v18, 16, v2
	v_fmac_f16_e32 v50, v46, v59
	v_fmac_f16_e32 v23, v52, v43
	v_fma_f16 v19, v52, v78, -v19
	v_fmac_f16_e32 v21, v53, v22
	v_fma_f16 v20, v53, v79, -v20
	v_mul_f16_e64 v25, v132, v80
	v_mul_f16_e64 v22, v132, v60
	;; [unrolled: 1-line block ×3, first 2 shown]
	v_fma_f16 v1, -0.5, v1, v2
	v_sub_f16_e32 v46, v86, v32
	v_sub_f16_e32 v27, v77, v82
	;; [unrolled: 1-line block ×3, first 2 shown]
	v_add_f16_e32 v52, v77, v83
	v_mul_f16_e64 v53, v129, v64
	v_add_f16_e32 v26, v2, v77
	v_fmac_f16_e32 v25, v54, v60
	v_fma_f16 v24, v54, v80, -v22
	v_fmac_f16_e32 v43, v55, v64
	v_fmamk_f16 v22, v46, 0xbb9c, v1
	v_sub_f16_e32 v47, v61, v62
	v_add_f16_e32 v54, v27, v28
	v_fma_f16 v2, -0.5, v52, v2
	v_fma_f16 v28, v55, v81, -v53
	v_fmac_f16_e32 v1, 0x3b9c, v46
	v_add_f16_e32 v55, v18, v86
	v_fmac_f16_e32 v22, 0xb8b4, v47
	v_fmamk_f16 v27, v47, 0x3b9c, v2
	v_sub_f16_e32 v52, v82, v77
	v_sub_f16_e32 v53, v84, v83
	v_fmac_f16_e32 v1, 0x38b4, v47
	v_add_f16_e32 v59, v61, v62
	v_fmac_f16_e32 v2, 0xbb9c, v47
	v_add_f16_e32 v47, v55, v61
	;; [unrolled: 2-line block ×3, first 2 shown]
	v_fma_f16 v53, -0.5, v59, v18
	v_sub_f16_e32 v55, v77, v83
	v_fmac_f16_e32 v2, 0x38b4, v46
	v_add_f16_e32 v46, v47, v62
	v_sub_f16_e32 v60, v86, v61
	v_sub_f16_e32 v64, v32, v62
	v_fmac_f16_e32 v22, 0x34f2, v54
	v_fmac_f16_e32 v1, 0x34f2, v54
	;; [unrolled: 1-line block ×3, first 2 shown]
	v_fmamk_f16 v47, v55, 0x3b9c, v53
	v_add_f16_e32 v54, v86, v32
	v_sub_f16_e32 v59, v82, v84
	v_fmac_f16_e32 v2, 0x34f2, v52
	v_add_f16_e32 v46, v46, v32
	v_add_f16_e32 v52, v60, v64
	v_fmac_f16_e32 v53, 0xbb9c, v55
	v_sub_f16_e32 v60, v61, v86
	v_sub_f16_e32 v32, v62, v32
	v_fmac_f16_e32 v18, -0.5, v54
	v_fmac_f16_e32 v47, 0x38b4, v59
	v_add_f16_e32 v61, v87, v63
	v_fmac_f16_e32 v53, 0xb8b4, v59
	v_add_f16_e32 v32, v60, v32
	v_add_f16_e32 v60, v3, v85
	v_lshrrev_b32_e32 v16, 16, v3
	v_fmamk_f16 v54, v59, 0xbb9c, v18
	v_fmac_f16_e32 v47, 0x34f2, v52
	v_fma_f16 v61, -0.5, v61, v3
	v_sub_f16_e32 v62, v34, v31
	v_fmac_f16_e32 v53, 0x34f2, v52
	v_fmac_f16_e32 v18, 0x3b9c, v59
	v_add_f16_e32 v52, v60, v87
	v_add_f16_e32 v68, v85, v65
	v_fmac_f16_e32 v54, 0x38b4, v55
	v_fmamk_f16 v59, v62, 0xbb9c, v61
	v_sub_f16_e32 v60, v29, v30
	v_sub_f16_e32 v64, v85, v87
	;; [unrolled: 1-line block ×3, first 2 shown]
	v_fmac_f16_e32 v18, 0xb8b4, v55
	v_add_f16_e32 v52, v52, v63
	v_fmac_f16_e32 v3, -0.5, v68
	v_fmac_f16_e32 v61, 0x3b9c, v62
	v_add_f16_e32 v68, v16, v34
	v_fmac_f16_e32 v54, 0x34f2, v32
	v_fmac_f16_e32 v59, 0xb8b4, v60
	v_add_f16_e32 v55, v64, v67
	v_fmac_f16_e32 v18, 0x34f2, v32
	v_add_f16_e32 v32, v52, v65
	v_fmamk_f16 v52, v60, 0x3b9c, v3
	v_sub_f16_e32 v64, v87, v85
	v_sub_f16_e32 v67, v63, v65
	v_fmac_f16_e32 v61, 0x38b4, v60
	v_add_f16_e32 v69, v29, v30
	v_fmac_f16_e32 v3, 0xbb9c, v60
	v_add_f16_e32 v60, v68, v29
	v_fmac_f16_e32 v59, 0x34f2, v55
	v_fmac_f16_e32 v52, 0xb8b4, v62
	v_add_f16_e32 v64, v64, v67
	v_fma_f16 v67, -0.5, v69, v16
	v_sub_f16_e32 v65, v85, v65
	v_fmac_f16_e32 v61, 0x34f2, v55
	v_fmac_f16_e32 v3, 0x38b4, v62
	v_add_f16_e32 v55, v60, v30
	v_add_f16_e32 v62, v34, v31
	v_sub_f16_e32 v68, v34, v29
	v_sub_f16_e32 v69, v31, v30
	;; [unrolled: 1-line block ×4, first 2 shown]
	v_fmamk_f16 v60, v65, 0x3b9c, v67
	v_sub_f16_e32 v63, v87, v63
	v_fmac_f16_e32 v16, -0.5, v62
	v_add_f16_e32 v55, v55, v31
	v_fmac_f16_e32 v67, 0xbb9c, v65
	v_add_f16_e32 v31, v36, v66
	v_add_f16_e32 v29, v29, v30
	;; [unrolled: 1-line block ×3, first 2 shown]
	v_lshrrev_b32_e32 v17, 16, v4
	v_fmac_f16_e32 v52, 0x34f2, v64
	v_fmac_f16_e32 v3, 0x34f2, v64
	;; [unrolled: 1-line block ×3, first 2 shown]
	v_add_f16_e32 v62, v68, v69
	v_fmamk_f16 v64, v63, 0xbb9c, v16
	v_fmac_f16_e32 v67, 0xb8b4, v63
	v_fma_f16 v31, -0.5, v31, v4
	v_sub_f16_e32 v34, v35, v40
	v_fmac_f16_e32 v16, 0x3b9c, v63
	v_add_f16_e32 v30, v30, v36
	v_add_f16_e32 v70, v33, v37
	v_fmac_f16_e32 v60, 0x34f2, v62
	v_fmac_f16_e32 v64, 0x38b4, v65
	;; [unrolled: 1-line block ×3, first 2 shown]
	v_fmamk_f16 v62, v34, 0xbb9c, v31
	v_sub_f16_e32 v63, v38, v49
	v_sub_f16_e32 v68, v33, v36
	;; [unrolled: 1-line block ×3, first 2 shown]
	v_fmac_f16_e32 v16, 0xb8b4, v65
	v_add_f16_e32 v30, v30, v66
	v_fma_f16 v4, -0.5, v70, v4
	v_fmac_f16_e32 v31, 0x3b9c, v34
	v_add_f16_e32 v70, v17, v35
	v_fmac_f16_e32 v64, 0x34f2, v29
	v_fmac_f16_e32 v62, 0xb8b4, v63
	v_add_f16_e32 v65, v68, v69
	v_fmac_f16_e32 v16, 0x34f2, v29
	v_add_f16_e32 v29, v30, v37
	v_fmamk_f16 v30, v63, 0x3b9c, v4
	v_sub_f16_e32 v68, v36, v33
	v_sub_f16_e32 v69, v66, v37
	v_fmac_f16_e32 v31, 0x38b4, v63
	v_add_f16_e32 v71, v38, v49
	v_fmac_f16_e32 v4, 0xbb9c, v63
	v_add_f16_e32 v63, v70, v38
	;; [unrolled: 2-line block ×3, first 2 shown]
	v_fma_f16 v69, -0.5, v71, v17
	v_sub_f16_e32 v33, v33, v37
	v_fmac_f16_e32 v4, 0x38b4, v34
	v_add_f16_e32 v34, v63, v49
	v_add_f16_e32 v63, v35, v40
	v_fmac_f16_e32 v62, 0x34f2, v65
	v_fmac_f16_e32 v31, 0x34f2, v65
	v_fmamk_f16 v37, v33, 0x3b9c, v69
	v_sub_f16_e32 v36, v36, v66
	v_sub_f16_e32 v65, v35, v38
	;; [unrolled: 1-line block ×3, first 2 shown]
	v_fmac_f16_e32 v17, -0.5, v63
	v_add_f16_e32 v34, v34, v40
	v_fmac_f16_e32 v69, 0xbb9c, v33
	v_sub_f16_e32 v35, v38, v35
	v_sub_f16_e32 v38, v49, v40
	v_add_f16_e32 v40, v44, v50
	v_lshrrev_b32_e32 v15, 16, v5
	v_fmac_f16_e32 v37, 0x38b4, v36
	v_add_f16_e32 v63, v65, v66
	v_fmamk_f16 v65, v36, 0xbb9c, v17
	v_fmac_f16_e32 v69, 0xb8b4, v36
	v_add_f16_e32 v35, v35, v38
	v_add_f16_e32 v38, v5, v48
	v_fma_f16 v40, -0.5, v40, v5
	v_sub_f16_e32 v49, v42, v41
	v_fmac_f16_e32 v17, 0x3b9c, v36
	v_add_f16_e32 v70, v48, v51
	v_fmac_f16_e32 v30, 0x34f2, v68
	v_fmac_f16_e32 v4, 0x34f2, v68
	;; [unrolled: 1-line block ×5, first 2 shown]
	v_add_f16_e32 v36, v38, v44
	v_fmamk_f16 v38, v49, 0xbb9c, v40
	v_sub_f16_e32 v63, v39, v45
	v_sub_f16_e32 v66, v48, v44
	;; [unrolled: 1-line block ×3, first 2 shown]
	v_fmac_f16_e32 v17, 0xb8b4, v33
	v_fmac_f16_e32 v5, -0.5, v70
	v_fmac_f16_e32 v40, 0x3b9c, v49
	v_add_f16_e32 v70, v15, v42
	v_fmac_f16_e32 v65, 0x34f2, v35
	v_add_f16_e32 v33, v36, v50
	v_fmac_f16_e32 v38, 0xb8b4, v63
	v_add_f16_e32 v36, v66, v68
	v_fmac_f16_e32 v17, 0x34f2, v35
	v_fmamk_f16 v35, v63, 0x3b9c, v5
	v_sub_f16_e32 v66, v44, v48
	v_sub_f16_e32 v68, v50, v51
	v_fmac_f16_e32 v40, 0x38b4, v63
	v_add_f16_e32 v71, v39, v45
	v_fmac_f16_e32 v5, 0xbb9c, v63
	v_add_f16_e32 v63, v70, v39
	v_add_f16_e32 v33, v33, v51
	v_fmac_f16_e32 v38, 0x34f2, v36
	v_add_f16_e32 v66, v66, v68
	v_fma_f16 v68, -0.5, v71, v15
	v_sub_f16_e32 v48, v48, v51
	v_fmac_f16_e32 v40, 0x34f2, v36
	v_add_f16_e32 v36, v63, v45
	v_add_f16_e32 v51, v42, v41
	v_fmac_f16_e32 v35, 0xb8b4, v49
	v_fmac_f16_e32 v5, 0x38b4, v49
	v_fmamk_f16 v49, v48, 0x3b9c, v68
	v_sub_f16_e32 v44, v44, v50
	v_sub_f16_e32 v50, v42, v39
	;; [unrolled: 1-line block ×3, first 2 shown]
	v_fmac_f16_e32 v15, -0.5, v51
	v_add_f16_e32 v36, v36, v41
	v_fmac_f16_e32 v68, 0xbb9c, v48
	v_sub_f16_e32 v39, v39, v42
	v_sub_f16_e32 v41, v45, v41
	v_add_f16_e32 v42, v21, v25
	v_fmac_f16_e32 v49, 0x38b4, v44
	v_add_f16_e32 v50, v50, v63
	v_fmamk_f16 v51, v44, 0xbb9c, v15
	v_fmac_f16_e32 v68, 0xb8b4, v44
	v_add_f16_e32 v39, v39, v41
	v_fmac_f16_e32 v15, 0x3b9c, v44
	v_add_f16_e32 v41, v0, v23
	v_fma_f16 v42, -0.5, v42, v0
	v_sub_f16_e32 v44, v19, v28
	v_fmac_f16_e32 v35, 0x34f2, v66
	v_fmac_f16_e32 v5, 0x34f2, v66
	;; [unrolled: 1-line block ×6, first 2 shown]
	v_add_f16_e32 v41, v41, v21
	v_fmamk_f16 v45, v44, 0xbb9c, v42
	v_sub_f16_e32 v48, v20, v24
	v_sub_f16_e32 v50, v23, v21
	v_sub_f16_e32 v63, v43, v25
	v_fmac_f16_e32 v42, 0x3b9c, v44
	v_add_f16_e32 v66, v23, v43
	v_lshrrev_b32_e32 v14, 16, v0
	v_add_f16_e32 v41, v41, v25
	v_fmac_f16_e32 v45, 0xb8b4, v48
	v_add_f16_e32 v50, v50, v63
	v_fmac_f16_e32 v42, 0x38b4, v48
	v_fmac_f16_e32 v0, -0.5, v66
	v_sub_f16_e32 v63, v21, v23
	v_sub_f16_e32 v66, v25, v43
	v_fmac_f16_e32 v51, 0x34f2, v39
	v_fmac_f16_e32 v15, 0x34f2, v39
	v_add_f16_e32 v39, v41, v43
	v_fmac_f16_e32 v45, 0x34f2, v50
	v_fmac_f16_e32 v42, 0x34f2, v50
	v_fmamk_f16 v41, v48, 0x3b9c, v0
	v_add_f16_e32 v50, v20, v24
	v_fmac_f16_e32 v0, 0xbb9c, v48
	v_sub_f16_e32 v23, v23, v43
	v_add_f16_e32 v43, v63, v66
	v_add_f16_e32 v63, v19, v28
	;; [unrolled: 1-line block ×4, first 2 shown]
	v_fma_f16 v50, -0.5, v50, v14
	v_fmac_f16_e32 v41, 0xb8b4, v44
	v_fmac_f16_e32 v0, 0x38b4, v44
	v_sub_f16_e32 v21, v21, v25
	v_fmac_f16_e32 v14, -0.5, v63
	v_add_f16_e32 v26, v26, v84
	v_add_f16_e32 v44, v48, v20
	v_fmac_f16_e32 v41, 0x34f2, v43
	v_fmac_f16_e32 v0, 0x34f2, v43
	v_sub_f16_e32 v43, v19, v20
	v_fmamk_f16 v63, v21, 0xbb9c, v14
	v_sub_f16_e32 v19, v20, v19
	v_sub_f16_e32 v20, v24, v28
	v_fmac_f16_e32 v14, 0x3b9c, v21
	v_fmamk_f16 v48, v23, 0x3b9c, v50
	v_fmac_f16_e32 v50, 0xbb9c, v23
	v_add_f16_e32 v26, v26, v83
	v_fmac_f16_e32 v63, 0x38b4, v23
	v_add_f16_e32 v19, v19, v20
	v_fmac_f16_e32 v14, 0xb8b4, v23
	v_fmac_f16_e32 v48, 0x38b4, v21
	v_fmac_f16_e32 v50, 0xb8b4, v21
	v_pack_b32_f16 v21, v22, v47
	v_add_f16_e32 v25, v44, v24
	v_sub_f16_e32 v44, v28, v24
	v_pack_b32_f16 v22, v27, v54
	v_pack_b32_f16 v2, v2, v18
	;; [unrolled: 1-line block ×3, first 2 shown]
	v_fmac_f16_e32 v63, 0x34f2, v19
	v_fmac_f16_e32 v14, 0x34f2, v19
	v_pack_b32_f16 v19, v26, v46
	v_pack_b32_f16 v18, v32, v55
	ds_store_b32 v109, v21 offset:1260
	ds_store_b32 v109, v22 offset:2520
	;; [unrolled: 1-line block ×4, first 2 shown]
	ds_store_2addr_b32 v109, v19, v18 offset1:63
	v_pack_b32_f16 v1, v59, v60
	v_pack_b32_f16 v18, v62, v37
	v_add_f16_e32 v24, v43, v44
	v_pack_b32_f16 v2, v52, v64
	v_pack_b32_f16 v3, v3, v16
	;; [unrolled: 1-line block ×6, first 2 shown]
	v_add_f16_e32 v20, v25, v28
	v_pack_b32_f16 v21, v29, v34
	ds_store_2addr_b32 v8, v1, v18 offset0:122 offset1:185
	ds_store_2addr_b32 v11, v2, v19 offset0:181 offset1:244
	v_pack_b32_f16 v1, v33, v36
	v_pack_b32_f16 v2, v5, v15
	v_fmac_f16_e32 v48, 0x34f2, v24
	ds_store_2addr_b32 v13, v3, v4 offset0:112 offset1:175
	ds_store_2addr_b32 v6, v16, v17 offset0:43 offset1:106
	v_pack_b32_f16 v3, v40, v68
	v_fmac_f16_e32 v50, 0x34f2, v24
	v_pack_b32_f16 v4, v35, v51
	ds_store_2addr_b32 v109, v21, v1 offset0:126 offset1:189
	ds_store_b32 v109, v2 offset:4536
	ds_store_b32 v109, v3 offset:5796
	v_pack_b32_f16 v2, v39, v20
	v_pack_b32_f16 v1, v38, v49
	;; [unrolled: 1-line block ×6, first 2 shown]
	ds_store_b32 v109, v4 offset:3276
	ds_store_b32 v109, v2 offset:1008
	ds_store_2addr_b32 v12, v1, v3 offset0:120 offset1:183
	ds_store_b32 v109, v5 offset:3528
	ds_store_b32 v109, v0 offset:4788
	;; [unrolled: 1-line block ×3, first 2 shown]
	global_wb scope:SCOPE_SE
	s_wait_dscnt 0x0
	s_barrier_signal -1
	s_barrier_wait -1
	global_inv scope:SCOPE_SE
	ds_load_2addr_b32 v[2:3], v109 offset1:63
	v_lshrrev_b32_e32 v5, 16, v154
	v_lshrrev_b32_e32 v23, 16, v156
	;; [unrolled: 1-line block ×3, first 2 shown]
	s_wait_dscnt 0x0
	v_lshrrev_b32_e32 v4, 16, v2
	s_delay_alu instid0(VALU_DEP_1) | instskip(NEXT) | instid1(VALU_DEP_1)
	v_mul_f16_e32 v0, v5, v4
	v_fmac_f16_e64 v0, v154, v2
	v_mul_f16_e32 v2, v5, v2
	s_delay_alu instid0(VALU_DEP_2) | instskip(NEXT) | instid1(VALU_DEP_2)
	v_cvt_f32_f16_e32 v0, v0
	v_fma_f16 v2, v154, v4, -v2
	s_delay_alu instid0(VALU_DEP_2) | instskip(NEXT) | instid1(VALU_DEP_2)
	v_cvt_f64_f32_e32 v[0:1], v0
	v_cvt_f32_f16_e32 v2, v2
	s_delay_alu instid0(VALU_DEP_1) | instskip(SKIP_1) | instid1(VALU_DEP_3)
	v_cvt_f64_f32_e32 v[4:5], v2
	s_wait_alu 0xfffe
	v_mul_f64_e32 v[12:13], s[10:11], v[0:1]
	ds_load_2addr_b32 v[1:2], v11 offset0:13 offset1:76
	v_mul_f64_e32 v[4:5], s[10:11], v[4:5]
	s_wait_dscnt 0x0
	v_lshrrev_b32_e32 v0, 16, v1
	s_delay_alu instid0(VALU_DEP_1) | instskip(NEXT) | instid1(VALU_DEP_1)
	v_mul_f16_e32 v14, v23, v0
	v_fmac_f16_e64 v14, v156, v1
	v_mul_f16_e32 v1, v23, v1
	s_delay_alu instid0(VALU_DEP_2) | instskip(NEXT) | instid1(VALU_DEP_2)
	v_cvt_f32_f16_e32 v14, v14
	v_fma_f16 v0, v156, v0, -v1
	v_and_or_b32 v12, 0x1ff, v13, v12
	v_lshrrev_b32_e32 v15, 8, v13
	v_bfe_u32 v16, v13, 20, 11
	s_delay_alu instid0(VALU_DEP_4) | instskip(NEXT) | instid1(VALU_DEP_4)
	v_cvt_f32_f16_e32 v0, v0
	v_cmp_ne_u32_e64 s0, 0, v12
	v_and_or_b32 v4, 0x1ff, v5, v4
	s_delay_alu instid0(VALU_DEP_4)
	v_sub_nc_u32_e32 v17, 0x3f1, v16
	v_lshrrev_b32_e32 v20, 8, v5
	v_bfe_u32 v21, v5, 20, 11
	s_wait_alu 0xf1ff
	v_cndmask_b32_e64 v12, 0, 1, s0
	v_cmp_ne_u32_e64 s0, 0, v4
	v_med3_i32 v17, v17, 0, 13
	v_add_nc_u32_e32 v23, 0xfffffc10, v16
	v_add_nc_u32_e32 v24, 0xfffffc10, v21
	v_and_or_b32 v12, 0xffe, v15, v12
	v_cvt_f64_f32_e32 v[14:15], v14
	s_wait_alu 0xf1ff
	v_cndmask_b32_e64 v4, 0, 1, s0
	v_cmp_gt_i32_e64 s2, 1, v24
	v_or_b32_e32 v18, 0x1000, v12
	v_lshl_or_b32 v16, v23, 12, v12
	s_delay_alu instid0(VALU_DEP_4) | instskip(SKIP_1) | instid1(VALU_DEP_4)
	v_and_or_b32 v22, 0xffe, v20, v4
	v_sub_nc_u32_e32 v4, 0x3f1, v21
	v_lshrrev_b32_e32 v19, v17, v18
	s_delay_alu instid0(VALU_DEP_2) | instskip(NEXT) | instid1(VALU_DEP_2)
	v_med3_i32 v4, v4, 0, 13
	v_lshlrev_b32_e32 v17, v17, v19
	s_delay_alu instid0(VALU_DEP_1) | instskip(SKIP_2) | instid1(VALU_DEP_2)
	v_cmp_ne_u32_e64 s0, v17, v18
	v_or_b32_e32 v18, 0x1000, v22
	s_wait_alu 0xf1ff
	v_cndmask_b32_e64 v17, 0, 1, s0
	v_cmp_gt_i32_e64 s0, 1, v23
	s_delay_alu instid0(VALU_DEP_3) | instskip(NEXT) | instid1(VALU_DEP_3)
	v_lshrrev_b32_e32 v20, v4, v18
	v_or_b32_e32 v1, v19, v17
	s_delay_alu instid0(VALU_DEP_2) | instskip(SKIP_1) | instid1(VALU_DEP_2)
	v_lshlrev_b32_e32 v4, v4, v20
	s_wait_alu 0xf1ff
	v_cndmask_b32_e64 v1, v16, v1, s0
	v_cvt_f64_f32_e32 v[16:17], v0
	s_delay_alu instid0(VALU_DEP_3)
	v_cmp_ne_u32_e64 s0, v4, v18
	v_mad_co_u64_u32 v[18:19], null, s6, v58, 0
	v_mul_f64_e32 v[14:15], s[10:11], v[14:15]
	v_and_b32_e32 v0, 7, v1
	s_wait_alu 0xf1ff
	v_cndmask_b32_e64 v4, 0, 1, s0
	v_lshrrev_b32_e32 v21, 2, v1
	s_delay_alu instid0(VALU_DEP_3)
	v_cmp_lt_i32_e64 s0, 5, v0
	v_cmp_eq_u32_e64 s1, 3, v0
	ds_load_2addr_b32 v[0:1], v10 offset0:26 offset1:89
	v_or_b32_e32 v4, v20, v4
	v_lshl_or_b32 v20, v24, 12, v22
	s_or_b32 s0, s1, s0
	s_delay_alu instid0(VALU_DEP_1) | instskip(SKIP_3) | instid1(VALU_DEP_3)
	v_cndmask_b32_e64 v25, v20, v4, s2
	s_wait_alu 0xfffe
	v_add_co_ci_u32_e64 v20, s0, 0, v21, s0
	v_cmp_ne_u32_e64 s0, 0, v12
	v_dual_mov_b32 v4, v19 :: v_dual_and_b32 v21, 7, v25
	v_cmp_eq_u32_e64 s2, 0x40f, v23
	s_wait_alu 0xf1ff
	s_delay_alu instid0(VALU_DEP_3) | instskip(SKIP_2) | instid1(VALU_DEP_3)
	v_cndmask_b32_e64 v12, 0, 1, s0
	v_cmp_gt_i32_e64 s0, 31, v23
	v_cmp_eq_u32_e64 s1, 3, v21
	v_lshl_or_b32 v12, v12, 9, 0x7c00
	s_wait_alu 0xf1ff
	s_delay_alu instid0(VALU_DEP_3)
	v_cndmask_b32_e64 v26, 0x7c00, v20, s0
	v_cmp_lt_i32_e64 s0, 5, v21
	v_mad_co_u64_u32 v[19:20], null, s7, v58, v[4:5]
	v_lshrrev_b32_e32 v4, 2, v25
	s_wait_dscnt 0x0
	v_lshrrev_b32_e32 v27, 16, v0
	s_or_b32 s0, s1, s0
	v_cndmask_b32_e64 v26, v26, v12, s2
	v_lshrrev_b32_e32 v25, 16, v13
	v_mul_f64_e32 v[12:13], s[10:11], v[16:17]
	s_wait_alu 0xfffe
	v_add_co_ci_u32_e64 v4, s0, 0, v4, s0
	v_and_or_b32 v14, 0x1ff, v15, v14
	v_mul_f16_e32 v20, v31, v27
	v_cmp_ne_u32_e64 s0, 0, v22
	v_lshrrev_b32_e32 v21, 8, v15
	v_bfe_u32 v28, v15, 20, 11
	v_mad_co_u64_u32 v[16:17], null, s4, v150, 0
	s_wait_alu 0xf1ff
	v_cndmask_b32_e64 v22, 0, 1, s0
	v_fmac_f16_e64 v20, v151, v0
	v_cmp_ne_u32_e64 s0, 0, v14
	v_sub_nc_u32_e32 v29, 0x3f1, v28
	v_mul_f16_e32 v0, v31, v0
	v_lshl_or_b32 v22, v22, 9, 0x7c00
	v_cvt_f32_f16_e32 v20, v20
	s_wait_alu 0xf1ff
	v_cndmask_b32_e64 v14, 0, 1, s0
	v_cmp_gt_i32_e64 s0, 31, v24
	v_fma_f16 v0, v151, v27, -v0
	v_lshlrev_b64_e32 v[18:19], 2, v[18:19]
	v_lshrrev_b32_e32 v31, 16, v144
	v_and_or_b32 v14, 0xffe, v21, v14
	v_cvt_f64_f32_e32 v[20:21], v20
	s_wait_alu 0xf1ff
	v_cndmask_b32_e64 v23, 0x7c00, v4, s0
	v_mov_b32_e32 v4, v17
	v_med3_i32 v17, v29, 0, 13
	v_or_b32_e32 v30, 0x1000, v14
	v_cmp_eq_u32_e64 s0, 0x40f, v24
	v_cvt_f32_f16_e32 v0, v0
	s_wait_alu 0xf1ff
	s_delay_alu instid0(VALU_DEP_2)
	v_cndmask_b32_e64 v24, v23, v22, s0
	v_mad_co_u64_u32 v[22:23], null, s5, v150, v[4:5]
	v_lshrrev_b32_e32 v4, v17, v30
	v_and_or_b32 v23, 0x8000, v25, v26
	v_lshrrev_b32_e32 v5, 16, v5
	v_and_or_b32 v12, 0x1ff, v13, v12
	v_lshrrev_b32_e32 v26, 8, v13
	v_lshlrev_b32_e32 v25, v17, v4
	v_mov_b32_e32 v17, v22
	v_and_or_b32 v5, 0x8000, v5, v24
	v_and_b32_e32 v22, 0xffff, v23
	v_add_nc_u32_e32 v24, 0xfffffc10, v28
	v_cmp_ne_u32_e64 s0, v25, v30
	v_lshlrev_b64_e32 v[16:17], 2, v[16:17]
	v_lshrrev_b32_e32 v28, 16, v147
	v_lshl_or_b32 v22, v5, 16, v22
	v_lshl_or_b32 v25, v24, 12, v14
	s_wait_alu 0xf1ff
	v_cndmask_b32_e64 v23, 0, 1, s0
	v_cmp_ne_u32_e64 s0, 0, v12
	s_delay_alu instid0(VALU_DEP_2) | instskip(SKIP_1) | instid1(VALU_DEP_2)
	v_or_b32_e32 v23, v4, v23
	s_wait_alu 0xf1ff
	v_cndmask_b32_e64 v12, 0, 1, s0
	v_cvt_f64_f32_e32 v[4:5], v0
	v_bfe_u32 v0, v13, 20, 11
	v_cmp_gt_i32_e64 s0, 1, v24
	v_mul_f64_e32 v[20:21], s[10:11], v[20:21]
	v_and_or_b32 v12, 0xffe, v26, v12
	v_lshrrev_b32_e32 v13, 16, v13
	s_wait_alu 0xf1ff
	v_cndmask_b32_e64 v23, v25, v23, s0
	v_sub_nc_u32_e32 v25, 0x3f1, v0
	v_or_b32_e32 v27, 0x1000, v12
	v_add_co_u32 v18, s0, s8, v18
	s_delay_alu instid0(VALU_DEP_4) | instskip(NEXT) | instid1(VALU_DEP_4)
	v_and_b32_e32 v26, 7, v23
	v_med3_i32 v25, v25, 0, 13
	s_wait_alu 0xf1ff
	v_add_co_ci_u32_e64 v19, s0, s9, v19, s0
	v_add_co_u32 v16, s2, v18, v16
	v_cmp_lt_i32_e64 s0, 5, v26
	v_cmp_eq_u32_e64 s1, 3, v26
	v_lshrrev_b32_e32 v26, v25, v27
	v_lshrrev_b32_e32 v18, 2, v23
	s_wait_alu 0xf1ff
	v_add_co_ci_u32_e64 v17, s2, v19, v17, s2
	s_or_b32 s0, s1, s0
	v_lshlrev_b32_e32 v19, v25, v26
	s_wait_alu 0xfffe
	v_add_co_ci_u32_e64 v18, s0, 0, v18, s0
	v_lshrrev_b32_e32 v23, 16, v3
	v_add_nc_u32_e32 v0, 0xfffffc10, v0
	v_cmp_ne_u32_e64 s0, v19, v27
	global_store_b32 v[16:17], v22, off
	s_mul_u64 s[2:3], s[4:5], 0x20d
	v_mul_f16_e32 v25, v28, v23
	s_wait_alu 0xfffe
	s_lshl_b64 s[6:7], s[2:3], 2
	v_cndmask_b32_e64 v19, 0, 1, s0
	v_cmp_ne_u32_e64 s0, 0, v14
	v_fmac_f16_e64 v25, v147, v3
	v_mul_f64_e32 v[4:5], s[10:11], v[4:5]
	s_delay_alu instid0(VALU_DEP_4)
	v_or_b32_e32 v19, v26, v19
	s_wait_alu 0xf1ff
	v_cndmask_b32_e64 v14, 0, 1, s0
	v_cmp_gt_i32_e64 s0, 31, v24
	v_lshl_or_b32 v26, v0, 12, v12
	v_and_or_b32 v20, 0x1ff, v21, v20
	v_mul_f16_e32 v3, v28, v3
	v_lshl_or_b32 v14, v14, 9, 0x7c00
	s_wait_alu 0xf1ff
	v_cndmask_b32_e64 v27, 0x7c00, v18, s0
	v_cmp_gt_i32_e64 s0, 1, v0
	v_cvt_f32_f16_e32 v18, v25
	v_lshrrev_b32_e32 v28, 16, v15
	v_fma_f16 v3, v147, v23, -v3
	s_wait_alu 0xf1ff
	v_cndmask_b32_e64 v25, v26, v19, s0
	v_cmp_eq_u32_e64 s0, 0x40f, v24
	v_cvt_f64_f32_e32 v[18:19], v18
	v_lshrrev_b32_e32 v26, 8, v21
	v_cvt_f32_f16_e32 v3, v3
	s_wait_alu 0xf1ff
	v_cndmask_b32_e64 v24, v27, v14, s0
	v_cmp_ne_u32_e64 s0, 0, v20
	v_and_b32_e32 v14, 7, v25
	v_bfe_u32 v27, v21, 20, 11
	v_lshrrev_b32_e32 v21, 16, v21
	v_and_or_b32 v24, 0x8000, v28, v24
	s_wait_alu 0xf1ff
	v_cndmask_b32_e64 v20, 0, 1, s0
	v_cmp_lt_i32_e64 s0, 5, v14
	v_cmp_eq_u32_e64 s1, 3, v14
	v_lshrrev_b32_e32 v14, 2, v25
	v_sub_nc_u32_e32 v15, 0x3f1, v27
	v_and_or_b32 v20, 0xffe, v26, v20
	s_delay_alu instid0(VALU_DEP_4) | instskip(SKIP_2) | instid1(VALU_DEP_2)
	s_or_b32 s0, s1, s0
	s_wait_alu 0xfffe
	v_add_co_ci_u32_e64 v26, s0, 0, v14, s0
	v_or_b32_e32 v23, 0x1000, v20
	v_med3_i32 v25, v15, 0, 13
	v_cmp_ne_u32_e64 s0, 0, v12
	v_cvt_f64_f32_e32 v[14:15], v3
	v_and_or_b32 v4, 0x1ff, v5, v4
	s_delay_alu instid0(VALU_DEP_4) | instskip(SKIP_3) | instid1(VALU_DEP_3)
	v_lshrrev_b32_e32 v29, v25, v23
	s_wait_alu 0xf1ff
	v_cndmask_b32_e64 v12, 0, 1, s0
	v_cmp_gt_i32_e64 s0, 31, v0
	v_lshlrev_b32_e32 v25, v25, v29
	s_delay_alu instid0(VALU_DEP_3) | instskip(SKIP_1) | instid1(VALU_DEP_3)
	v_lshl_or_b32 v12, v12, 9, 0x7c00
	s_wait_alu 0xf1ff
	v_cndmask_b32_e64 v3, 0x7c00, v26, s0
	v_cmp_eq_u32_e64 s0, 0x40f, v0
	s_wait_alu 0xf1ff
	s_delay_alu instid0(VALU_DEP_1) | instskip(SKIP_2) | instid1(VALU_DEP_3)
	v_cndmask_b32_e64 v0, v3, v12, s0
	v_cmp_ne_u32_e64 s0, v25, v23
	v_add_nc_u32_e32 v23, 0xfffffc10, v27
	v_and_or_b32 v0, 0x8000, v13, v0
	s_wait_alu 0xf1ff
	s_delay_alu instid0(VALU_DEP_3)
	v_cndmask_b32_e64 v12, 0, 1, s0
	v_cmp_ne_u32_e64 s0, 0, v4
	v_mul_f64_e32 v[3:4], s[10:11], v[18:19]
	v_lshrrev_b32_e32 v18, 8, v5
	v_bfe_u32 v19, v5, 20, 11
	v_or_b32_e32 v12, v29, v12
	s_wait_alu 0xf1ff
	v_cndmask_b32_e64 v25, 0, 1, s0
	v_lshl_or_b32 v26, v23, 12, v20
	v_cmp_gt_i32_e64 s0, 1, v23
	v_and_b32_e32 v13, 0xffff, v24
	v_lshrrev_b32_e32 v29, 16, v149
	v_and_or_b32 v18, 0xffe, v18, v25
	v_sub_nc_u32_e32 v25, 0x3f1, v19
	s_wait_alu 0xf1ff
	v_cndmask_b32_e64 v12, v26, v12, s0
	v_lshl_or_b32 v0, v0, 16, v13
	v_add_nc_u32_e32 v19, 0xfffffc10, v19
	v_or_b32_e32 v24, 0x1000, v18
	v_med3_i32 v25, v25, 0, 13
	v_and_b32_e32 v26, 7, v12
	v_lshrrev_b32_e32 v5, 16, v5
	s_delay_alu instid0(VALU_DEP_3) | instskip(NEXT) | instid1(VALU_DEP_3)
	v_lshrrev_b32_e32 v22, v25, v24
	v_cmp_lt_i32_e64 s0, 5, v26
	v_cmp_eq_u32_e64 s1, 3, v26
	v_lshrrev_b32_e32 v26, 2, v12
	v_mul_f64_e32 v[12:13], s[10:11], v[14:15]
	v_lshlrev_b32_e32 v25, v25, v22
	s_delay_alu instid0(VALU_DEP_4) | instskip(SKIP_2) | instid1(VALU_DEP_2)
	s_or_b32 s0, s1, s0
	s_wait_alu 0xfffe
	v_add_co_ci_u32_e64 v14, s0, 0, v26, s0
	v_cmp_ne_u32_e64 s0, v25, v24
	v_lshrrev_b32_e32 v24, 16, v2
	s_wait_alu 0xf1ff
	s_delay_alu instid0(VALU_DEP_2)
	v_cndmask_b32_e64 v15, 0, 1, s0
	v_cmp_gt_i32_e64 s0, 31, v23
	v_and_or_b32 v3, 0x1ff, v4, v3
	v_lshrrev_b32_e32 v25, 8, v4
	v_bfe_u32 v26, v4, 20, 11
	v_or_b32_e32 v15, v22, v15
	s_wait_alu 0xf1ff
	v_cndmask_b32_e64 v14, 0x7c00, v14, s0
	v_cmp_ne_u32_e64 s0, 0, v20
	v_lshl_or_b32 v22, v19, 12, v18
	v_lshrrev_b32_e32 v4, 16, v4
	s_wait_alu 0xf1ff
	s_delay_alu instid0(VALU_DEP_3) | instskip(SKIP_1) | instid1(VALU_DEP_2)
	v_cndmask_b32_e64 v20, 0, 1, s0
	v_cmp_gt_i32_e64 s0, 1, v19
	v_lshl_or_b32 v20, v20, 9, 0x7c00
	s_wait_alu 0xf1ff
	s_delay_alu instid0(VALU_DEP_2) | instskip(SKIP_2) | instid1(VALU_DEP_2)
	v_cndmask_b32_e64 v22, v22, v15, s0
	v_mul_f16_e32 v15, v29, v24
	v_cmp_ne_u32_e64 s0, 0, v3
	v_fmac_f16_e64 v15, v149, v2
	s_wait_alu 0xf1ff
	s_delay_alu instid0(VALU_DEP_2)
	v_cndmask_b32_e64 v3, 0, 1, s0
	v_cmp_eq_u32_e64 s0, 0x40f, v23
	v_and_b32_e32 v23, 7, v22
	v_and_or_b32 v12, 0x1ff, v13, v12
	v_bfe_u32 v28, v13, 20, 11
	v_and_or_b32 v25, 0xffe, v25, v3
	s_wait_alu 0xf1ff
	v_cndmask_b32_e64 v20, v14, v20, s0
	v_cvt_f32_f16_e32 v14, v15
	v_cmp_lt_i32_e64 s0, 5, v23
	v_cmp_eq_u32_e64 s1, 3, v23
	v_sub_nc_u32_e32 v3, 0x3f1, v26
	v_and_or_b32 v20, 0x8000, v21, v20
	v_cvt_f64_f32_e32 v[14:15], v14
	v_lshrrev_b32_e32 v21, 2, v22
	s_or_b32 s0, s1, s0
	v_or_b32_e32 v27, 0x1000, v25
	v_med3_i32 v3, v3, 0, 13
	v_lshrrev_b32_e32 v23, 8, v13
	s_wait_alu 0xfffe
	v_add_co_ci_u32_e64 v21, s0, 0, v21, s0
	v_cmp_ne_u32_e64 s0, 0, v18
	v_lshrrev_b32_e32 v22, v3, v27
	v_mul_f16_e32 v2, v29, v2
	v_add_nc_u32_e32 v26, 0xfffffc10, v26
	v_lshrrev_b32_e32 v13, 16, v13
	s_wait_alu 0xf1ff
	v_cndmask_b32_e64 v18, 0, 1, s0
	v_cmp_ne_u32_e64 s0, 0, v12
	v_lshlrev_b32_e32 v3, v3, v22
	v_fma_f16 v2, v149, v24, -v2
	s_delay_alu instid0(VALU_DEP_4) | instskip(SKIP_3) | instid1(VALU_DEP_2)
	v_lshl_or_b32 v18, v18, 9, 0x7c00
	s_wait_alu 0xf1ff
	v_cndmask_b32_e64 v12, 0, 1, s0
	v_cmp_gt_i32_e64 s0, 31, v19
	v_and_or_b32 v12, 0xffe, v23, v12
	s_wait_alu 0xf1ff
	s_delay_alu instid0(VALU_DEP_2) | instskip(SKIP_4) | instid1(VALU_DEP_3)
	v_cndmask_b32_e64 v21, 0x7c00, v21, s0
	v_cmp_ne_u32_e64 s0, v3, v27
	v_sub_nc_u32_e32 v23, 0x3f1, v28
	v_or_b32_e32 v27, 0x1000, v12
	s_wait_alu 0xf1ff
	v_cndmask_b32_e64 v3, 0, 1, s0
	v_cmp_eq_u32_e64 s0, 0x40f, v19
	v_med3_i32 v23, v23, 0, 13
	v_lshl_or_b32 v19, v26, 12, v25
	s_delay_alu instid0(VALU_DEP_4)
	v_or_b32_e32 v3, v22, v3
	s_wait_alu 0xf1ff
	v_cndmask_b32_e64 v18, v21, v18, s0
	v_cvt_f32_f16_e32 v22, v2
	v_cmp_gt_i32_e64 s0, 1, v26
	v_lshrrev_b32_e32 v21, v23, v27
	s_delay_alu instid0(VALU_DEP_4)
	v_and_or_b32 v5, 0x8000, v5, v18
	v_and_b32_e32 v18, 0xffff, v20
	s_wait_alu 0xf1ff
	v_cndmask_b32_e64 v24, v19, v3, s0
	v_mul_f64_e32 v[2:3], s[10:11], v[14:15]
	v_cvt_f64_f32_e32 v[14:15], v22
	v_lshlrev_b32_e32 v19, v23, v21
	v_add_co_u32 v16, s0, v16, s6
	s_wait_alu 0xf1ff
	v_add_co_ci_u32_e64 v17, s0, s7, v17, s0
	s_delay_alu instid0(VALU_DEP_3)
	v_cmp_ne_u32_e64 s0, v19, v27
	v_and_b32_e32 v20, 7, v24
	v_add_nc_u32_e32 v22, 0xfffffc10, v28
	v_lshl_or_b32 v5, v5, 16, v18
	v_add_co_u32 v18, s2, v16, s6
	s_wait_alu 0xf1ff
	v_cndmask_b32_e64 v19, 0, 1, s0
	v_cmp_lt_i32_e64 s0, 5, v20
	v_cmp_eq_u32_e64 s1, 3, v20
	v_lshrrev_b32_e32 v23, 2, v24
	v_lshrrev_b32_e32 v24, 16, v1
	v_or_b32_e32 v20, v21, v19
	v_add_co_ci_u32_e64 v19, s2, s7, v17, s2
	v_lshl_or_b32 v21, v22, 12, v12
	v_cmp_gt_i32_e64 s2, 1, v22
	s_or_b32 s0, s1, s0
	s_clause 0x1
	global_store_b32 v[16:17], v0, off
	global_store_b32 v[18:19], v5, off
	v_cndmask_b32_e64 v20, v21, v20, s2
	s_wait_alu 0xfffe
	v_add_co_ci_u32_e64 v21, s0, 0, v23, s0
	v_cmp_ne_u32_e64 s0, 0, v25
	s_movk_i32 s2, 0xfc25
	v_and_b32_e32 v25, 7, v20
	v_lshrrev_b32_e32 v20, 2, v20
	s_mov_b32 s3, -1
	s_wait_alu 0xf1ff
	v_cndmask_b32_e64 v23, 0, 1, s0
	v_cmp_gt_i32_e64 s0, 31, v26
	v_cmp_eq_u32_e64 s1, 3, v25
	v_and_or_b32 v2, 0x1ff, v3, v2
	v_mul_f64_e32 v[14:15], s[10:11], v[14:15]
	v_lshrrev_b32_e32 v28, 8, v3
	s_wait_alu 0xf1ff
	v_cndmask_b32_e64 v27, 0x7c00, v21, s0
	v_mul_f16_e32 v21, v31, v24
	v_cmp_lt_i32_e64 s0, 5, v25
	v_bfe_u32 v29, v3, 20, 11
	v_lshl_or_b32 v23, v23, 9, 0x7c00
	v_lshrrev_b32_e32 v3, 16, v3
	v_fmac_f16_e64 v21, v144, v1
	s_or_b32 s0, s1, s0
	v_mul_f16_e32 v1, v31, v1
	s_wait_alu 0xfffe
	v_add_co_ci_u32_e64 v25, s0, 0, v20, s0
	v_cvt_f32_f16_e32 v20, v21
	v_cmp_ne_u32_e64 s0, 0, v2
	v_fma_f16 v1, v144, v24, -v1
	v_lshrrev_b32_e32 v31, 16, v140
	s_delay_alu instid0(VALU_DEP_4) | instskip(SKIP_4) | instid1(VALU_DEP_3)
	v_cvt_f64_f32_e32 v[20:21], v20
	s_wait_alu 0xf1ff
	v_cndmask_b32_e64 v2, 0, 1, s0
	v_cmp_ne_u32_e64 s0, 0, v12
	v_cvt_f32_f16_e32 v1, v1
	v_and_or_b32 v28, 0xffe, v28, v2
	s_wait_alu 0xf1ff
	s_delay_alu instid0(VALU_DEP_3) | instskip(SKIP_3) | instid1(VALU_DEP_4)
	v_cndmask_b32_e64 v12, 0, 1, s0
	v_sub_nc_u32_e32 v2, 0x3f1, v29
	v_cmp_gt_i32_e64 s0, 31, v22
	v_or_b32_e32 v30, 0x1000, v28
	v_lshl_or_b32 v12, v12, 9, 0x7c00
	s_delay_alu instid0(VALU_DEP_4) | instskip(SKIP_4) | instid1(VALU_DEP_1)
	v_med3_i32 v2, v2, 0, 13
	s_wait_alu 0xf1ff
	v_cndmask_b32_e64 v25, 0x7c00, v25, s0
	v_cmp_eq_u32_e64 s0, 0x40f, v26
	s_wait_alu 0xf1ff
	v_cndmask_b32_e64 v23, v27, v23, s0
	v_cmp_eq_u32_e64 s0, 0x40f, v22
	v_lshrrev_b32_e32 v22, v2, v30
	v_bfe_u32 v24, v15, 20, 11
	s_delay_alu instid0(VALU_DEP_4)
	v_and_or_b32 v0, 0x8000, v4, v23
	s_wait_alu 0xf1ff
	v_cndmask_b32_e64 v12, v25, v12, s0
	v_lshlrev_b32_e32 v2, v2, v22
	v_and_or_b32 v4, 0x1ff, v15, v14
	v_add_nc_u32_e32 v23, 0xfffffc10, v29
	v_and_b32_e32 v0, 0xffff, v0
	v_and_or_b32 v16, 0x8000, v13, v12
	v_cmp_ne_u32_e64 s0, v2, v30
	v_cvt_f64_f32_e32 v[12:13], v1
	v_lshl_or_b32 v14, v23, 12, v28
	s_wait_alu 0xf1ff
	s_delay_alu instid0(VALU_DEP_3) | instskip(SKIP_2) | instid1(VALU_DEP_3)
	v_cndmask_b32_e64 v2, 0, 1, s0
	v_cmp_ne_u32_e64 s0, 0, v4
	v_mul_f64_e32 v[4:5], s[10:11], v[20:21]
	v_or_b32_e32 v2, v22, v2
	s_wait_alu 0xf1ff
	s_delay_alu instid0(VALU_DEP_3) | instskip(SKIP_4) | instid1(VALU_DEP_3)
	v_cndmask_b32_e64 v17, 0, 1, s0
	v_cmp_gt_i32_e64 s0, 1, v23
	v_lshrrev_b32_e32 v22, 8, v15
	v_lshrrev_b32_e32 v15, 16, v15
	s_wait_alu 0xf1ff
	v_cndmask_b32_e64 v14, v14, v2, s0
	s_delay_alu instid0(VALU_DEP_3)
	v_and_or_b32 v20, 0xffe, v22, v17
	v_sub_nc_u32_e32 v17, 0x3f1, v24
	ds_load_2addr_b32 v[1:2], v109 offset0:126 offset1:189
	s_mul_u64 s[0:1], s[4:5], s[2:3]
	v_and_b32_e32 v21, 7, v14
	v_lshl_or_b32 v22, v16, 16, v0
	v_or_b32_e32 v0, 0x1000, v20
	v_med3_i32 v25, v17, 0, 13
	s_wait_alu 0xfffe
	s_lshl_b64 s[4:5], s[0:1], 2
	v_cmp_lt_i32_e64 s0, 5, v21
	v_cmp_eq_u32_e64 s1, 3, v21
	v_lshrrev_b32_e32 v14, 2, v14
	v_lshrrev_b32_e32 v21, v25, v0
	s_wait_alu 0xfffe
	v_add_co_u32 v16, s2, v18, s4
	s_or_b32 s0, s1, s0
	v_add_co_ci_u32_e64 v17, s2, s5, v19, s2
	s_wait_alu 0xfffe
	v_add_co_ci_u32_e64 v14, s0, 0, v14, s0
	v_lshlrev_b32_e32 v18, v25, v21
	v_cmp_ne_u32_e64 s0, 0, v28
	s_wait_dscnt 0x0
	v_lshrrev_b32_e32 v25, 16, v1
	v_lshrrev_b32_e32 v28, 16, v141
	v_add_nc_u32_e32 v24, 0xfffffc10, v24
	v_mul_f64_e32 v[12:13], s[10:11], v[12:13]
	s_wait_alu 0xf1ff
	v_cndmask_b32_e64 v19, 0, 1, s0
	v_cmp_ne_u32_e64 s0, v18, v0
	v_mul_f16_e32 v18, v28, v25
	v_and_or_b32 v4, 0x1ff, v5, v4
	v_bfe_u32 v27, v5, 20, 11
	v_lshl_or_b32 v26, v19, 9, 0x7c00
	s_wait_alu 0xf1ff
	v_cndmask_b32_e64 v0, 0, 1, s0
	v_cmp_gt_i32_e64 s0, 31, v23
	v_lshl_or_b32 v19, v24, 12, v20
	v_fmac_f16_e64 v18, v141, v1
	v_mul_f16_e32 v1, v28, v1
	v_or_b32_e32 v0, v21, v0
	s_wait_alu 0xf1ff
	v_cndmask_b32_e64 v14, 0x7c00, v14, s0
	v_cmp_gt_i32_e64 s0, 1, v24
	v_cvt_f32_f16_e32 v18, v18
	v_lshrrev_b32_e32 v21, 8, v5
	v_fma_f16 v1, v141, v25, -v1
	v_add_nc_u32_e32 v25, 0xfffffc10, v27
	s_wait_alu 0xf1ff
	v_cndmask_b32_e64 v0, v19, v0, s0
	v_cmp_ne_u32_e64 s0, 0, v4
	v_cvt_f64_f32_e32 v[18:19], v18
	v_cvt_f32_f16_e32 v1, v1
	global_store_b32 v[16:17], v22, off
	v_lshrrev_b32_e32 v28, 16, v143
	s_wait_alu 0xf1ff
	v_cndmask_b32_e64 v4, 0, 1, s0
	v_cmp_eq_u32_e64 s0, 0x40f, v23
	v_and_b32_e32 v23, 7, v0
	v_lshrrev_b32_e32 v0, 2, v0
	v_lshrrev_b32_e32 v5, 16, v5
	v_and_or_b32 v21, 0xffe, v21, v4
	v_sub_nc_u32_e32 v4, 0x3f1, v27
	s_wait_alu 0xf1ff
	v_cndmask_b32_e64 v14, v14, v26, s0
	v_cmp_lt_i32_e64 s0, 5, v23
	v_cmp_eq_u32_e64 s1, 3, v23
	v_or_b32_e32 v26, 0x1000, v21
	v_med3_i32 v4, v4, 0, 13
	v_and_or_b32 v3, 0x8000, v3, v14
	v_and_or_b32 v12, 0x1ff, v13, v12
	s_or_b32 s0, s1, s0
	s_wait_alu 0xfffe
	v_add_co_ci_u32_e64 v23, s0, 0, v0, s0
	v_lshrrev_b32_e32 v14, v4, v26
	v_cmp_ne_u32_e64 s0, 0, v20
	v_cvt_f64_f32_e32 v[0:1], v1
	v_and_b32_e32 v3, 0xffff, v3
	s_delay_alu instid0(VALU_DEP_4) | instskip(SKIP_3) | instid1(VALU_DEP_2)
	v_lshlrev_b32_e32 v4, v4, v14
	s_wait_alu 0xf1ff
	v_cndmask_b32_e64 v20, 0, 1, s0
	v_cmp_gt_i32_e64 s0, 31, v24
	v_lshl_or_b32 v20, v20, 9, 0x7c00
	s_wait_alu 0xf1ff
	s_delay_alu instid0(VALU_DEP_2) | instskip(SKIP_3) | instid1(VALU_DEP_2)
	v_cndmask_b32_e64 v23, 0x7c00, v23, s0
	v_cmp_ne_u32_e64 s0, v4, v26
	v_mul_f64_e32 v[18:19], s[10:11], v[18:19]
	s_wait_alu 0xf1ff
	v_cndmask_b32_e64 v4, 0, 1, s0
	v_cmp_eq_u32_e64 s0, 0x40f, v24
	v_bfe_u32 v24, v13, 20, 11
	s_delay_alu instid0(VALU_DEP_3) | instskip(SKIP_1) | instid1(VALU_DEP_3)
	v_or_b32_e32 v4, v14, v4
	s_wait_alu 0xf1ff
	v_cndmask_b32_e64 v20, v23, v20, s0
	v_cmp_ne_u32_e64 s0, 0, v12
	v_lshl_or_b32 v14, v25, 12, v21
	v_lshrrev_b32_e32 v23, 8, v13
	s_wait_alu 0xf1ff
	s_delay_alu instid0(VALU_DEP_3) | instskip(SKIP_1) | instid1(VALU_DEP_2)
	v_cndmask_b32_e64 v12, 0, 1, s0
	v_cmp_gt_i32_e64 s0, 1, v25
	v_and_or_b32 v23, 0xffe, v23, v12
	s_wait_alu 0xf1ff
	s_delay_alu instid0(VALU_DEP_2) | instskip(SKIP_3) | instid1(VALU_DEP_4)
	v_cndmask_b32_e64 v14, v14, v4, s0
	v_sub_nc_u32_e32 v4, 0x3f1, v24
	v_and_or_b32 v12, 0x8000, v15, v20
	v_or_b32_e32 v20, 0x1000, v23
	v_and_b32_e32 v15, 7, v14
	s_delay_alu instid0(VALU_DEP_4) | instskip(NEXT) | instid1(VALU_DEP_4)
	v_med3_i32 v26, v4, 0, 13
	v_lshl_or_b32 v22, v12, 16, v3
	ds_load_2addr_b32 v[3:4], v11 offset0:139 offset1:202
	v_add_co_u32 v11, s2, v16, s6
	v_lshrrev_b32_e32 v27, v26, v20
	v_cmp_lt_i32_e64 s0, 5, v15
	v_cmp_eq_u32_e64 s1, 3, v15
	v_lshrrev_b32_e32 v16, 2, v14
	s_wait_alu 0xf1ff
	v_add_co_ci_u32_e64 v12, s2, s7, v17, s2
	v_lshlrev_b32_e32 v17, v26, v27
	s_or_b32 s0, s1, s0
	v_mul_f64_e32 v[14:15], s[10:11], v[0:1]
	s_wait_alu 0xfffe
	v_add_co_ci_u32_e64 v0, s0, 0, v16, s0
	v_cmp_ne_u32_e64 s0, v17, v20
	v_add_nc_u32_e32 v20, 0xfffffc10, v24
	v_and_or_b32 v18, 0x1ff, v19, v18
	v_bfe_u32 v26, v19, 20, 11
	s_wait_alu 0xf1ff
	v_cndmask_b32_e64 v1, 0, 1, s0
	v_cmp_ne_u32_e64 s0, 0, v21
	v_lshl_or_b32 v17, v20, 12, v23
	s_wait_dscnt 0x0
	v_lshrrev_b32_e32 v21, 16, v3
	v_or_b32_e32 v1, v27, v1
	s_wait_alu 0xf1ff
	v_cndmask_b32_e64 v16, 0, 1, s0
	v_cmp_gt_i32_e64 s0, 31, v25
	v_mul_f16_e32 v24, v28, v21
	s_delay_alu instid0(VALU_DEP_3) | instskip(SKIP_1) | instid1(VALU_DEP_3)
	v_lshl_or_b32 v16, v16, 9, 0x7c00
	s_wait_alu 0xf1ff
	v_cndmask_b32_e64 v0, 0x7c00, v0, s0
	v_cmp_gt_i32_e64 s0, 1, v20
	v_fmac_f16_e64 v24, v143, v3
	v_mul_f16_e32 v3, v28, v3
	s_wait_alu 0xf1ff
	s_delay_alu instid0(VALU_DEP_3)
	v_cndmask_b32_e64 v1, v17, v1, s0
	v_cmp_ne_u32_e64 s0, 0, v18
	v_lshrrev_b32_e32 v18, 8, v19
	v_cvt_f32_f16_e32 v24, v24
	v_fma_f16 v3, v143, v21, -v3
	s_wait_alu 0xf1ff
	v_cndmask_b32_e64 v17, 0, 1, s0
	v_cmp_eq_u32_e64 s0, 0x40f, v25
	s_delay_alu instid0(VALU_DEP_3) | instskip(NEXT) | instid1(VALU_DEP_3)
	v_cvt_f32_f16_e32 v3, v3
	v_and_or_b32 v18, 0xffe, v18, v17
	s_wait_alu 0xf1ff
	s_delay_alu instid0(VALU_DEP_3)
	v_cndmask_b32_e64 v25, v0, v16, s0
	v_sub_nc_u32_e32 v0, 0x3f1, v26
	v_and_b32_e32 v16, 7, v1
	v_and_or_b32 v14, 0x1ff, v15, v14
	v_or_b32_e32 v17, 0x1000, v18
	v_lshrrev_b32_e32 v21, 8, v15
	v_med3_i32 v27, v0, 0, 13
	v_cmp_lt_i32_e64 s0, 5, v16
	v_cmp_eq_u32_e64 s1, 3, v16
	v_lshrrev_b32_e32 v16, 2, v1
	v_cvt_f64_f32_e32 v[0:1], v24
	v_lshrrev_b32_e32 v24, v27, v17
	v_add_nc_u32_e32 v26, 0xfffffc10, v26
	s_or_b32 s0, s1, s0
	v_and_or_b32 v5, 0x8000, v5, v25
	s_wait_alu 0xfffe
	v_add_co_ci_u32_e64 v28, s0, 0, v16, s0
	v_lshlrev_b32_e32 v16, v27, v24
	v_cmp_ne_u32_e64 s0, 0, v14
	v_bfe_u32 v27, v15, 20, 11
	v_and_b32_e32 v5, 0xffff, v5
	s_wait_alu 0xf1ff
	s_delay_alu instid0(VALU_DEP_3) | instskip(SKIP_2) | instid1(VALU_DEP_3)
	v_cndmask_b32_e64 v14, 0, 1, s0
	v_cmp_ne_u32_e64 s0, v16, v17
	v_cvt_f64_f32_e32 v[16:17], v3
	v_and_or_b32 v30, 0xffe, v21, v14
	s_wait_alu 0xf1ff
	s_delay_alu instid0(VALU_DEP_3) | instskip(SKIP_3) | instid1(VALU_DEP_4)
	v_cndmask_b32_e64 v29, 0, 1, s0
	v_cmp_ne_u32_e64 s0, 0, v23
	v_sub_nc_u32_e32 v14, 0x3f1, v27
	v_lshl_or_b32 v23, v26, 12, v18
	v_or_b32_e32 v21, v24, v29
	s_wait_alu 0xf1ff
	v_cndmask_b32_e64 v3, 0, 1, s0
	v_cmp_gt_i32_e64 s0, 31, v20
	v_or_b32_e32 v24, 0x1000, v30
	v_med3_i32 v14, v14, 0, 13
	s_delay_alu instid0(VALU_DEP_4) | instskip(SKIP_4) | instid1(VALU_DEP_1)
	v_lshl_or_b32 v3, v3, 9, 0x7c00
	s_wait_alu 0xf1ff
	v_cndmask_b32_e64 v28, 0x7c00, v28, s0
	v_cmp_gt_i32_e64 s0, 1, v26
	s_wait_alu 0xf1ff
	v_cndmask_b32_e64 v21, v23, v21, s0
	v_lshrrev_b32_e32 v23, v14, v24
	v_cmp_eq_u32_e64 s0, 0x40f, v20
	v_lshrrev_b32_e32 v20, 16, v13
	s_delay_alu instid0(VALU_DEP_4) | instskip(SKIP_1) | instid1(VALU_DEP_3)
	v_and_b32_e32 v25, 7, v21
	s_wait_alu 0xf1ff
	v_cndmask_b32_e64 v3, v28, v3, s0
	v_lshlrev_b32_e32 v28, v14, v23
	v_mul_f64_e32 v[13:14], s[10:11], v[0:1]
	v_cmp_lt_i32_e64 s0, 5, v25
	ds_load_2addr_b32 v[0:1], v10 offset0:152 offset1:215
	v_and_or_b32 v3, 0x8000, v20, v3
	v_cmp_ne_u32_e64 s1, v28, v24
	v_add_nc_u32_e32 v24, 0xfffffc10, v27
	v_mul_f64_e32 v[16:17], s[10:11], v[16:17]
	s_delay_alu instid0(VALU_DEP_4)
	v_lshl_or_b32 v3, v3, 16, v5
	s_wait_alu 0xf1ff
	v_cndmask_b32_e64 v10, 0, 1, s1
	v_cmp_eq_u32_e64 s1, 3, v25
	v_lshrrev_b32_e32 v5, 2, v21
	v_lshl_or_b32 v20, v24, 12, v30
	s_delay_alu instid0(VALU_DEP_4) | instskip(NEXT) | instid1(VALU_DEP_4)
	v_or_b32_e32 v10, v23, v10
	s_or_b32 s0, s1, s0
	s_wait_alu 0xfffe
	v_add_co_ci_u32_e64 v5, s0, 0, v5, s0
	v_cmp_ne_u32_e64 s0, 0, v18
	s_wait_dscnt 0x0
	v_lshrrev_b32_e32 v25, 16, v0
	s_wait_alu 0xf1ff
	s_delay_alu instid0(VALU_DEP_2) | instskip(SKIP_1) | instid1(VALU_DEP_2)
	v_cndmask_b32_e64 v18, 0, 1, s0
	v_cmp_gt_i32_e64 s0, 1, v24
	v_lshl_or_b32 v18, v18, 9, 0x7c00
	s_wait_alu 0xf1ff
	s_delay_alu instid0(VALU_DEP_2) | instskip(SKIP_1) | instid1(VALU_DEP_2)
	v_cndmask_b32_e64 v10, v20, v10, s0
	v_cmp_gt_i32_e64 s0, 31, v26
	v_and_b32_e32 v23, 7, v10
	s_wait_alu 0xf1ff
	s_delay_alu instid0(VALU_DEP_2)
	v_cndmask_b32_e64 v5, 0x7c00, v5, s0
	v_add_co_u32 v20, s0, v11, s6
	s_wait_alu 0xf1ff
	v_add_co_ci_u32_e64 v21, s0, s7, v12, s0
	v_cmp_eq_u32_e64 s0, 0x40f, v26
	v_cmp_eq_u32_e64 s1, 3, v23
	v_lshrrev_b32_e32 v10, 2, v10
	v_and_or_b32 v13, 0x1ff, v14, v13
	v_lshrrev_b32_e32 v26, 8, v14
	s_wait_alu 0xf1ff
	v_cndmask_b32_e64 v5, v5, v18, s0
	v_mul_f16_e32 v18, v31, v25
	v_cmp_lt_i32_e64 s0, 5, v23
	v_lshrrev_b32_e32 v23, 16, v19
	v_bfe_u32 v27, v14, 20, 11
	v_and_or_b32 v16, 0x1ff, v17, v16
	v_fmac_f16_e64 v18, v140, v0
	s_or_b32 s0, s1, s0
	v_and_or_b32 v5, 0x8000, v23, v5
	s_wait_alu 0xfffe
	v_add_co_ci_u32_e64 v10, s0, 0, v10, s0
	v_cvt_f32_f16_e32 v18, v18
	v_cmp_ne_u32_e64 s0, 0, v13
	v_mul_f16_e32 v0, v31, v0
	v_and_b32_e32 v5, 0xffff, v5
	global_store_b32 v[11:12], v22, off
	global_store_b32 v[20:21], v3, off
	v_cvt_f64_f32_e32 v[18:19], v18
	s_wait_alu 0xf1ff
	v_cndmask_b32_e64 v13, 0, 1, s0
	v_cmp_ne_u32_e64 s0, 0, v30
	v_fma_f16 v0, v140, v25, -v0
	v_lshrrev_b32_e32 v14, 16, v14
	s_delay_alu instid0(VALU_DEP_4)
	v_and_or_b32 v13, 0xffe, v26, v13
	s_wait_alu 0xf1ff
	v_cndmask_b32_e64 v28, 0, 1, s0
	v_sub_nc_u32_e32 v26, 0x3f1, v27
	v_cmp_gt_i32_e64 s0, 31, v24
	v_cvt_f32_f16_e32 v0, v0
	v_or_b32_e32 v29, 0x1000, v13
	v_lshl_or_b32 v28, v28, 9, 0x7c00
	v_med3_i32 v26, v26, 0, 13
	s_wait_alu 0xf1ff
	v_cndmask_b32_e64 v10, 0x7c00, v10, s0
	v_cmp_eq_u32_e64 s0, 0x40f, v24
	v_lshrrev_b32_e32 v24, 8, v17
	v_add_nc_u32_e32 v27, 0xfffffc10, v27
	v_lshrrev_b32_e32 v23, v26, v29
	s_wait_alu 0xf1ff
	v_cndmask_b32_e64 v10, v10, v28, s0
	v_cmp_ne_u32_e64 s0, 0, v16
	v_bfe_u32 v28, v17, 20, 11
	v_lshlrev_b32_e32 v25, v26, v23
	v_lshrrev_b32_e32 v26, 16, v15
	v_lshrrev_b32_e32 v17, 16, v17
	s_wait_alu 0xf1ff
	v_cndmask_b32_e64 v16, 0, 1, s0
	v_sub_nc_u32_e32 v15, 0x3f1, v28
	v_cmp_ne_u32_e64 s0, v25, v29
	v_and_or_b32 v10, 0x8000, v26, v10
	v_add_nc_u32_e32 v22, 0xfffffc10, v28
	v_and_or_b32 v24, 0xffe, v24, v16
	v_med3_i32 v30, v15, 0, 13
	s_wait_alu 0xf1ff
	v_cndmask_b32_e64 v25, 0, 1, s0
	v_cvt_f64_f32_e32 v[15:16], v0
	v_cmp_gt_i32_e64 s0, 1, v27
	v_or_b32_e32 v29, 0x1000, v24
	v_lshrrev_b32_e32 v26, 16, v136
	v_or_b32_e32 v0, v23, v25
	v_lshl_or_b32 v23, v27, 12, v13
	v_mul_f64_e32 v[18:19], s[10:11], v[18:19]
	v_lshrrev_b32_e32 v25, v30, v29
	v_lshl_or_b32 v5, v10, 16, v5
	v_cmp_gt_i32_e64 s2, 1, v22
	s_wait_alu 0xf1ff
	v_cndmask_b32_e64 v0, v23, v0, s0
	v_lshrrev_b32_e32 v28, 16, v130
	v_lshlrev_b32_e32 v23, v30, v25
	s_delay_alu instid0(VALU_DEP_3) | instskip(SKIP_1) | instid1(VALU_DEP_3)
	v_and_b32_e32 v3, 7, v0
	v_lshrrev_b32_e32 v0, 2, v0
	v_cmp_ne_u32_e64 s0, v23, v29
	v_lshrrev_b32_e32 v23, 16, v2
	s_delay_alu instid0(VALU_DEP_4) | instskip(SKIP_1) | instid1(VALU_DEP_3)
	v_cmp_eq_u32_e64 s1, 3, v3
	s_wait_alu 0xf1ff
	v_cndmask_b32_e64 v12, 0, 1, s0
	v_add_co_u32 v10, s0, v20, s4
	s_wait_alu 0xf1ff
	v_add_co_ci_u32_e64 v11, s0, s5, v21, s0
	v_mul_f16_e32 v20, v26, v23
	v_or_b32_e32 v12, v25, v12
	v_lshl_or_b32 v21, v22, 12, v24
	v_cmp_lt_i32_e64 s0, 5, v3
	global_store_b32 v[10:11], v5, off
	v_fmac_f16_e64 v20, v136, v2
	v_mul_f16_e32 v2, v26, v2
	v_cndmask_b32_e64 v3, v21, v12, s2
	s_or_b32 s0, s1, s0
	v_cmp_gt_i32_e64 s2, 31, v27
	s_wait_alu 0xfffe
	v_add_co_ci_u32_e64 v0, s0, 0, v0, s0
	v_cvt_f32_f16_e32 v20, v20
	v_and_b32_e32 v21, 7, v3
	v_cmp_ne_u32_e64 s0, 0, v13
	v_mul_f64_e32 v[12:13], s[10:11], v[15:16]
	v_lshrrev_b32_e32 v3, 2, v3
	v_cvt_f64_f32_e32 v[15:16], v20
	v_cmp_eq_u32_e64 s1, 3, v21
	s_wait_alu 0xf1ff
	v_cndmask_b32_e64 v25, 0, 1, s0
	v_cmp_lt_i32_e64 s0, 5, v21
	v_and_or_b32 v18, 0x1ff, v19, v18
	v_lshrrev_b32_e32 v21, 8, v19
	v_fma_f16 v2, v136, v23, -v2
	v_lshl_or_b32 v20, v25, 9, 0x7c00
	s_or_b32 s0, s1, s0
	v_bfe_u32 v25, v19, 20, 11
	s_wait_alu 0xfffe
	v_add_co_ci_u32_e64 v3, s0, 0, v3, s0
	v_cmp_ne_u32_e64 s0, 0, v18
	v_cvt_f32_f16_e32 v2, v2
	v_cndmask_b32_e64 v0, 0x7c00, v0, s2
	v_lshrrev_b32_e32 v5, 16, v4
	v_lshrrev_b32_e32 v19, 16, v19
	s_wait_alu 0xf1ff
	v_cndmask_b32_e64 v18, 0, 1, s0
	v_cmp_ne_u32_e64 s0, 0, v24
	s_delay_alu instid0(VALU_DEP_2) | instskip(SKIP_1) | instid1(VALU_DEP_2)
	v_and_or_b32 v18, 0xffe, v21, v18
	s_wait_alu 0xf1ff
	v_cndmask_b32_e64 v23, 0, 1, s0
	v_sub_nc_u32_e32 v21, 0x3f1, v25
	v_cmp_gt_i32_e64 s0, 31, v22
	v_or_b32_e32 v26, 0x1000, v18
	s_delay_alu instid0(VALU_DEP_4) | instskip(NEXT) | instid1(VALU_DEP_4)
	v_lshl_or_b32 v23, v23, 9, 0x7c00
	v_med3_i32 v21, v21, 0, 13
	s_wait_alu 0xf1ff
	v_cndmask_b32_e64 v24, 0x7c00, v3, s0
	v_cmp_eq_u32_e64 s0, 0x40f, v27
	v_cvt_f64_f32_e32 v[2:3], v2
	v_lshrrev_b32_e32 v27, 16, v137
	s_wait_alu 0xf1ff
	s_delay_alu instid0(VALU_DEP_3) | instskip(SKIP_3) | instid1(VALU_DEP_4)
	v_cndmask_b32_e64 v0, v0, v20, s0
	v_lshrrev_b32_e32 v20, v21, v26
	v_cmp_eq_u32_e64 s0, 0x40f, v22
	v_and_or_b32 v12, 0x1ff, v13, v12
	v_and_or_b32 v0, 0x8000, v14, v0
	s_delay_alu instid0(VALU_DEP_4)
	v_lshlrev_b32_e32 v21, v21, v20
	s_wait_alu 0xf1ff
	v_cndmask_b32_e64 v22, v24, v23, s0
	v_mul_f64_e32 v[14:15], s[10:11], v[15:16]
	v_bfe_u32 v23, v13, 20, 11
	v_and_b32_e32 v0, 0xffff, v0
	v_cmp_ne_u32_e64 s0, v21, v26
	v_and_or_b32 v16, 0x8000, v17, v22
	v_lshrrev_b32_e32 v22, 8, v13
	v_add_nc_u32_e32 v21, 0xfffffc10, v25
	v_lshrrev_b32_e32 v13, 16, v13
	s_wait_alu 0xf1ff
	v_cndmask_b32_e64 v17, 0, 1, s0
	v_cmp_ne_u32_e64 s0, 0, v12
	v_lshl_or_b32 v0, v16, 16, v0
	s_delay_alu instid0(VALU_DEP_3) | instskip(SKIP_1) | instid1(VALU_DEP_3)
	v_or_b32_e32 v17, v20, v17
	s_wait_alu 0xf1ff
	v_cndmask_b32_e64 v12, 0, 1, s0
	v_lshl_or_b32 v20, v21, 12, v18
	v_cmp_gt_i32_e64 s0, 1, v21
	s_delay_alu instid0(VALU_DEP_3) | instskip(SKIP_2) | instid1(VALU_DEP_3)
	v_and_or_b32 v12, 0xffe, v22, v12
	v_sub_nc_u32_e32 v22, 0x3f1, v23
	s_wait_alu 0xf1ff
	v_cndmask_b32_e64 v20, v20, v17, s0
	v_add_co_u32 v16, s0, v10, s6
	v_or_b32_e32 v24, 0x1000, v12
	v_med3_i32 v22, v22, 0, 13
	s_wait_alu 0xf1ff
	v_add_co_ci_u32_e64 v17, s0, s7, v11, s0
	v_mul_f64_e32 v[2:3], s[10:11], v[2:3]
	v_and_b32_e32 v11, 7, v20
	v_lshrrev_b32_e32 v10, v22, v24
	global_store_b32 v[16:17], v0, off
	v_mul_f16_e32 v0, v27, v5
	v_cmp_lt_i32_e64 s0, 5, v11
	v_lshlrev_b32_e32 v22, v22, v10
	v_cmp_eq_u32_e64 s1, 3, v11
	s_delay_alu instid0(VALU_DEP_4)
	v_fmac_f16_e64 v0, v137, v4
	v_lshrrev_b32_e32 v11, 2, v20
	v_and_or_b32 v14, 0x1ff, v15, v14
	v_cmp_ne_u32_e64 s2, v22, v24
	s_or_b32 s0, s1, s0
	v_cvt_f32_f16_e32 v0, v0
	v_add_nc_u32_e32 v22, 0xfffffc10, v23
	s_wait_alu 0xfffe
	v_add_co_ci_u32_e64 v23, s0, 0, v11, s0
	v_cndmask_b32_e64 v20, 0, 1, s2
	v_cmp_ne_u32_e64 s0, 0, v14
	v_lshrrev_b32_e32 v14, 8, v15
	v_bfe_u32 v25, v15, 20, 11
	v_lshl_or_b32 v24, v22, 12, v12
	v_or_b32_e32 v20, v10, v20
	v_cvt_f64_f32_e32 v[10:11], v0
	s_wait_alu 0xf1ff
	v_cndmask_b32_e64 v0, 0, 1, s0
	v_cmp_ne_u32_e64 s0, 0, v18
	v_mul_f16_e32 v4, v27, v4
	v_lshrrev_b32_e32 v15, 16, v15
	s_delay_alu instid0(VALU_DEP_4)
	v_and_or_b32 v0, 0xffe, v14, v0
	s_wait_alu 0xf1ff
	v_cndmask_b32_e64 v18, 0, 1, s0
	v_cmp_gt_i32_e64 s0, 1, v22
	v_sub_nc_u32_e32 v14, 0x3f1, v25
	v_fma_f16 v4, v137, v5, -v4
	v_or_b32_e32 v26, 0x1000, v0
	v_lshl_or_b32 v18, v18, 9, 0x7c00
	s_wait_alu 0xf1ff
	v_cndmask_b32_e64 v20, v24, v20, s0
	v_cmp_gt_i32_e64 s0, 31, v21
	v_med3_i32 v14, v14, 0, 13
	v_and_or_b32 v2, 0x1ff, v3, v2
	v_lshrrev_b32_e32 v5, 8, v3
	v_and_b32_e32 v24, 7, v20
	s_wait_alu 0xf1ff
	v_cndmask_b32_e64 v23, 0x7c00, v23, s0
	v_cmp_eq_u32_e64 s0, 0x40f, v21
	v_lshrrev_b32_e32 v21, v14, v26
	v_cmp_ne_u32_e64 s2, 0, v2
	v_cmp_eq_u32_e64 s1, 3, v24
	v_lshrrev_b32_e32 v20, 2, v20
	s_wait_alu 0xf1ff
	v_cndmask_b32_e64 v18, v23, v18, s0
	v_lshlrev_b32_e32 v14, v14, v21
	v_cmp_lt_i32_e64 s0, 5, v24
	v_cndmask_b32_e64 v2, 0, 1, s2
	v_bfe_u32 v23, v3, 20, 11
	v_cvt_f32_f16_e32 v24, v4
	v_cmp_ne_u32_e64 s2, v14, v26
	s_or_b32 s0, s1, s0
	v_add_nc_u32_e32 v25, 0xfffffc10, v25
	s_wait_alu 0xfffe
	v_add_co_ci_u32_e64 v20, s0, 0, v20, s0
	v_cndmask_b32_e64 v14, 0, 1, s2
	v_and_or_b32 v2, 0xffe, v5, v2
	v_sub_nc_u32_e32 v26, 0x3f1, v23
	v_cmp_ne_u32_e64 s0, 0, v12
	v_mul_f64_e32 v[4:5], s[10:11], v[10:11]
	v_cvt_f64_f32_e32 v[10:11], v24
	v_or_b32_e32 v14, v21, v14
	v_lshl_or_b32 v21, v25, 12, v0
	v_or_b32_e32 v24, 0x1000, v2
	v_med3_i32 v26, v26, 0, 13
	s_wait_alu 0xf1ff
	v_cndmask_b32_e64 v12, 0, 1, s0
	v_cmp_gt_i32_e64 s0, 1, v25
	v_and_or_b32 v18, 0x8000, v19, v18
	s_delay_alu instid0(VALU_DEP_3) | instskip(SKIP_1) | instid1(VALU_DEP_3)
	v_lshl_or_b32 v12, v12, 9, 0x7c00
	s_wait_alu 0xf1ff
	v_cndmask_b32_e64 v14, v21, v14, s0
	v_lshrrev_b32_e32 v21, v26, v24
	v_cmp_gt_i32_e64 s0, 31, v22
	v_and_b32_e32 v18, 0xffff, v18
	s_delay_alu instid0(VALU_DEP_4) | instskip(NEXT) | instid1(VALU_DEP_4)
	v_and_b32_e32 v19, 7, v14
	v_lshlrev_b32_e32 v26, v26, v21
	s_wait_alu 0xf1ff
	v_cndmask_b32_e64 v20, 0x7c00, v20, s0
	v_cmp_eq_u32_e64 s0, 0x40f, v22
	v_add_nc_u32_e32 v22, 0xfffffc10, v23
	v_cmp_ne_u32_e64 s1, v26, v24
	v_lshrrev_b32_e32 v26, 16, v134
	s_wait_alu 0xf1ff
	v_cndmask_b32_e64 v12, v20, v12, s0
	v_cmp_lt_i32_e64 s0, 5, v19
	v_cndmask_b32_e64 v20, 0, 1, s1
	v_cmp_eq_u32_e64 s1, 3, v19
	s_delay_alu instid0(VALU_DEP_4)
	v_and_or_b32 v19, 0x8000, v13, v12
	v_lshrrev_b32_e32 v12, 2, v14
	v_lshl_or_b32 v14, v22, 12, v2
	v_or_b32_e32 v13, v21, v20
	s_or_b32 s0, s1, s0
	v_lshl_or_b32 v27, v19, 16, v18
	s_wait_alu 0xfffe
	v_add_co_ci_u32_e64 v12, s0, 0, v12, s0
	v_cmp_ne_u32_e64 s0, 0, v0
	v_and_or_b32 v4, 0x1ff, v5, v4
	v_mul_f64_e32 v[10:11], s[10:11], v[10:11]
	v_lshrrev_b32_e32 v23, 8, v5
	v_bfe_u32 v24, v5, 20, 11
	s_wait_alu 0xf1ff
	v_cndmask_b32_e64 v0, 0, 1, s0
	v_cmp_gt_i32_e64 s0, 1, v22
	v_lshrrev_b32_e32 v5, 16, v5
	s_delay_alu instid0(VALU_DEP_3) | instskip(SKIP_1) | instid1(VALU_DEP_3)
	v_lshl_or_b32 v0, v0, 9, 0x7c00
	s_wait_alu 0xf1ff
	v_cndmask_b32_e64 v13, v14, v13, s0
	v_cmp_gt_i32_e64 s0, 31, v25
	v_lshrrev_b32_e32 v14, 16, v1
	s_delay_alu instid0(VALU_DEP_3) | instskip(SKIP_1) | instid1(VALU_DEP_3)
	v_and_b32_e32 v20, 7, v13
	s_wait_alu 0xf1ff
	v_cndmask_b32_e64 v12, 0x7c00, v12, s0
	v_cmp_ne_u32_e64 s0, 0, v4
	v_mul_f16_e32 v21, v26, v14
	v_cmp_eq_u32_e64 s1, 3, v20
	s_wait_alu 0xf1ff
	s_delay_alu instid0(VALU_DEP_3) | instskip(SKIP_3) | instid1(VALU_DEP_4)
	v_cndmask_b32_e64 v4, 0, 1, s0
	v_cmp_eq_u32_e64 s0, 0x40f, v25
	v_fmac_f16_e64 v21, v134, v1
	v_mul_f16_e32 v1, v26, v1
	v_and_or_b32 v23, 0xffe, v23, v4
	s_wait_alu 0xf1ff
	v_cndmask_b32_e64 v0, v12, v0, s0
	v_cmp_lt_i32_e64 s0, 5, v20
	v_lshrrev_b32_e32 v20, 2, v13
	v_sub_nc_u32_e32 v4, 0x3f1, v24
	v_cvt_f32_f16_e32 v12, v21
	v_or_b32_e32 v21, 0x1000, v23
	s_or_b32 s0, s1, s0
	v_and_or_b32 v0, 0x8000, v15, v0
	s_wait_alu 0xfffe
	v_add_co_ci_u32_e64 v20, s0, 0, v20, s0
	v_med3_i32 v4, v4, 0, 13
	v_cvt_f64_f32_e32 v[12:13], v12
	v_cmp_ne_u32_e64 s0, 0, v2
	v_fma_f16 v1, v134, v14, -v1
	v_bfe_u32 v14, v11, 20, 11
	v_lshrrev_b32_e32 v25, v4, v21
	v_and_b32_e32 v0, 0xffff, v0
	s_wait_alu 0xf1ff
	v_cndmask_b32_e64 v2, 0, 1, s0
	v_cmp_gt_i32_e64 s0, 31, v22
	v_cvt_f32_f16_e32 v1, v1
	v_lshlrev_b32_e32 v4, v4, v25
	s_delay_alu instid0(VALU_DEP_4) | instskip(SKIP_4) | instid1(VALU_DEP_1)
	v_lshl_or_b32 v2, v2, 9, 0x7c00
	s_wait_alu 0xf1ff
	v_cndmask_b32_e64 v20, 0x7c00, v20, s0
	v_cmp_eq_u32_e64 s0, 0x40f, v22
	s_wait_alu 0xf1ff
	v_cndmask_b32_e64 v15, v20, v2, s0
	v_and_or_b32 v2, 0x1ff, v11, v10
	v_cmp_ne_u32_e64 s0, v4, v21
	v_lshrrev_b32_e32 v20, 16, v3
	v_add_nc_u32_e32 v21, 0xfffffc10, v24
	v_lshrrev_b32_e32 v4, 8, v11
	v_sub_nc_u32_e32 v24, 0x3f1, v14
	s_wait_alu 0xf1ff
	v_cndmask_b32_e64 v3, 0, 1, s0
	v_cmp_ne_u32_e64 s0, 0, v2
	v_lshl_or_b32 v10, v21, 12, v23
	v_and_or_b32 v15, 0x8000, v20, v15
	v_med3_i32 v24, v24, 0, 13
	v_or_b32_e32 v3, v25, v3
	s_wait_alu 0xf1ff
	v_cndmask_b32_e64 v2, 0, 1, s0
	v_cmp_gt_i32_e64 s0, 1, v21
	v_lshl_or_b32 v20, v15, 16, v0
	v_lshrrev_b32_e32 v11, 16, v11
	s_delay_alu instid0(VALU_DEP_4)
	v_and_or_b32 v22, 0xffe, v4, v2
	s_wait_alu 0xf1ff
	v_cndmask_b32_e64 v25, v10, v3, s0
	v_cvt_f64_f32_e32 v[3:4], v1
	ds_load_2addr_b32 v[1:2], v9 offset0:124 offset1:187
	v_mul_f64_e32 v[9:10], s[10:11], v[12:13]
	v_or_b32_e32 v26, 0x1000, v22
	v_and_b32_e32 v18, 7, v25
	v_add_co_u32 v12, s0, v16, s6
	s_wait_alu 0xf1ff
	v_add_co_ci_u32_e64 v13, s0, s7, v17, s0
	v_lshrrev_b32_e32 v19, v24, v26
	v_cmp_lt_i32_e64 s0, 5, v18
	v_cmp_eq_u32_e64 s1, 3, v18
	v_lshrrev_b32_e32 v0, 2, v25
	v_lshrrev_b32_e32 v25, 16, v131
	v_lshlrev_b32_e32 v16, v24, v19
	s_delay_alu instid0(VALU_DEP_4) | instskip(SKIP_2) | instid1(VALU_DEP_2)
	s_or_b32 s0, s1, s0
	s_wait_alu 0xfffe
	v_add_co_ci_u32_e64 v0, s0, 0, v0, s0
	v_cmp_ne_u32_e64 s2, v16, v26
	v_add_nc_u32_e32 v16, 0xfffffc10, v14
	s_wait_dscnt 0x0
	v_lshrrev_b32_e32 v18, 16, v1
	v_cmp_ne_u32_e64 s0, 0, v23
	s_wait_alu 0xf1ff
	v_cndmask_b32_e64 v15, 0, 1, s2
	s_delay_alu instid0(VALU_DEP_3) | instskip(NEXT) | instid1(VALU_DEP_2)
	v_mul_f16_e32 v17, v25, v18
	v_or_b32_e32 v14, v19, v15
	v_lshl_or_b32 v15, v16, 12, v22
	v_cndmask_b32_e64 v19, 0, 1, s0
	v_cmp_gt_i32_e64 s0, 1, v16
	v_fmac_f16_e64 v17, v131, v1
	v_mul_f16_e32 v1, v25, v1
	s_wait_alu 0xf1ff
	s_delay_alu instid0(VALU_DEP_3)
	v_cndmask_b32_e64 v23, v15, v14, s0
	v_cmp_gt_i32_e64 s0, 31, v21
	v_lshl_or_b32 v14, v19, 9, 0x7c00
	v_cvt_f32_f16_e32 v15, v17
	v_mul_f64_e32 v[3:4], s[10:11], v[3:4]
	v_and_or_b32 v9, 0x1ff, v10, v9
	s_wait_alu 0xf1ff
	v_cndmask_b32_e64 v0, 0x7c00, v0, s0
	v_cmp_eq_u32_e64 s0, 0x40f, v21
	v_and_b32_e32 v19, 7, v23
	v_bfe_u32 v21, v10, 20, 11
	v_cmp_ne_u32_e64 s2, 0, v9
	v_lshrrev_b32_e32 v17, 2, v23
	s_wait_alu 0xf1ff
	v_cndmask_b32_e64 v0, v0, v14, s0
	v_cvt_f64_f32_e32 v[14:15], v15
	v_cmp_lt_i32_e64 s0, 5, v19
	v_cmp_eq_u32_e64 s1, 3, v19
	v_cndmask_b32_e64 v9, 0, 1, s2
	v_lshrrev_b32_e32 v19, 8, v10
	v_fma_f16 v1, v131, v18, -v1
	v_and_or_b32 v5, 0x8000, v5, v0
	s_or_b32 s0, s1, s0
	s_delay_alu instid0(VALU_DEP_3)
	v_and_or_b32 v9, 0xffe, v19, v9
	v_sub_nc_u32_e32 v19, 0x3f1, v21
	s_wait_alu 0xfffe
	v_add_co_ci_u32_e64 v17, s0, 0, v17, s0
	v_cmp_ne_u32_e64 s0, 0, v22
	v_or_b32_e32 v23, 0x1000, v9
	v_med3_i32 v19, v19, 0, 13
	v_cvt_f32_f16_e32 v1, v1
	v_add_nc_u32_e32 v21, 0xfffffc10, v21
	s_wait_alu 0xf1ff
	v_cndmask_b32_e64 v22, 0, 1, s0
	v_cmp_gt_i32_e64 s0, 31, v16
	v_lshrrev_b32_e32 v24, v19, v23
	v_and_b32_e32 v5, 0xffff, v5
	s_delay_alu instid0(VALU_DEP_4)
	v_lshl_or_b32 v22, v22, 9, 0x7c00
	s_wait_alu 0xf1ff
	v_cndmask_b32_e64 v17, 0x7c00, v17, s0
	v_cmp_eq_u32_e64 s0, 0x40f, v16
	v_lshlrev_b32_e32 v18, v19, v24
	v_and_or_b32 v0, 0x1ff, v4, v3
	s_wait_alu 0xf1ff
	s_delay_alu instid0(VALU_DEP_3)
	v_cndmask_b32_e64 v22, v17, v22, s0
	v_add_co_u32 v16, s0, v12, s4
	s_wait_alu 0xf1ff
	v_add_co_ci_u32_e64 v17, s0, s5, v13, s0
	v_cmp_ne_u32_e64 s0, v18, v23
	v_cvt_f64_f32_e32 v[18:19], v1
	v_and_or_b32 v11, 0x8000, v11, v22
	v_mul_f64_e32 v[14:15], s[10:11], v[14:15]
	v_lshrrev_b32_e32 v23, 8, v4
	s_wait_alu 0xf1ff
	v_cndmask_b32_e64 v3, 0, 1, s0
	v_cmp_ne_u32_e64 s0, 0, v0
	v_bfe_u32 v25, v4, 20, 11
	ds_load_2addr_b32 v[0:1], v7 offset0:9 offset1:72
	global_store_b32 v[12:13], v27, off
	global_store_b32 v[16:17], v20, off
	v_or_b32_e32 v3, v24, v3
	s_wait_alu 0xf1ff
	v_cndmask_b32_e64 v22, 0, 1, s0
	v_lshl_or_b32 v24, v21, 12, v9
	v_cmp_gt_i32_e64 s0, 1, v21
	v_lshl_or_b32 v5, v11, 16, v5
	v_lshrrev_b32_e32 v4, 16, v4
	v_and_or_b32 v22, 0xffe, v23, v22
	v_sub_nc_u32_e32 v23, 0x3f1, v25
	s_wait_alu 0xf1ff
	v_cndmask_b32_e64 v3, v24, v3, s0
	v_add_co_u32 v11, s0, v16, s6
	v_or_b32_e32 v24, 0x1000, v22
	v_med3_i32 v23, v23, 0, 13
	s_delay_alu instid0(VALU_DEP_4)
	v_and_b32_e32 v13, 7, v3
	s_wait_alu 0xf1ff
	v_add_co_ci_u32_e64 v12, s0, s7, v17, s0
	v_lshrrev_b32_e32 v3, 2, v3
	v_lshrrev_b32_e32 v20, v23, v24
	v_cmp_lt_i32_e64 s0, 5, v13
	v_cmp_eq_u32_e64 s1, 3, v13
	global_store_b32 v[11:12], v5, off
	v_lshlrev_b32_e32 v16, v23, v20
	s_wait_dscnt 0x0
	v_lshrrev_b32_e32 v23, 16, v0
	s_or_b32 s0, s1, s0
	s_wait_alu 0xfffe
	v_add_co_ci_u32_e64 v3, s0, 0, v3, s0
	v_cmp_ne_u32_e64 s2, v16, v24
	v_mul_f16_e32 v16, v28, v23
	v_add_nc_u32_e32 v24, 0xfffffc10, v25
	v_and_or_b32 v17, 0x1ff, v15, v14
	v_lshrrev_b32_e32 v25, 8, v15
	s_wait_alu 0xf1ff
	v_cndmask_b32_e64 v13, 0, 1, s2
	v_fmac_f16_e64 v16, v130, v0
	v_bfe_u32 v26, v15, 20, 11
	v_cmp_ne_u32_e64 s0, 0, v17
	v_cmp_eq_u32_e64 s2, 0x40f, v21
	v_or_b32_e32 v20, v20, v13
	v_mul_f64_e32 v[13:14], s[10:11], v[18:19]
	v_lshl_or_b32 v18, v24, 12, v22
	v_cvt_f32_f16_e32 v16, v16
	s_wait_alu 0xf1ff
	v_cndmask_b32_e64 v19, 0, 1, s0
	v_cmp_gt_i32_e64 s0, 1, v24
	v_mul_f16_e32 v0, v28, v0
	v_lshrrev_b32_e32 v28, 16, v128
	v_cvt_f64_f32_e32 v[16:17], v16
	v_and_or_b32 v19, 0xffe, v25, v19
	s_wait_alu 0xf1ff
	v_cndmask_b32_e64 v18, v18, v20, s0
	v_cmp_ne_u32_e64 s0, 0, v9
	v_sub_nc_u32_e32 v20, 0x3f1, v26
	v_fma_f16 v0, v130, v23, -v0
	v_or_b32_e32 v27, 0x1000, v19
	v_and_b32_e32 v25, 7, v18
	s_wait_alu 0xf1ff
	v_cndmask_b32_e64 v9, 0, 1, s0
	v_cmp_gt_i32_e64 s0, 31, v21
	v_med3_i32 v20, v20, 0, 13
	v_lshrrev_b32_e32 v18, 2, v18
	v_cmp_eq_u32_e64 s1, 3, v25
	v_lshl_or_b32 v9, v9, 9, 0x7c00
	s_wait_alu 0xf1ff
	v_cndmask_b32_e64 v3, 0x7c00, v3, s0
	v_cmp_lt_i32_e64 s0, 5, v25
	v_lshrrev_b32_e32 v25, v20, v27
	v_cvt_f32_f16_e32 v0, v0
	s_delay_alu instid0(VALU_DEP_4) | instskip(NEXT) | instid1(VALU_DEP_4)
	v_cndmask_b32_e64 v3, v3, v9, s2
	s_or_b32 s0, s1, s0
	s_wait_alu 0xfffe
	v_add_co_ci_u32_e64 v9, s0, 0, v18, s0
	v_lshlrev_b32_e32 v18, v20, v25
	v_cmp_gt_i32_e64 s0, 31, v24
	v_lshrrev_b32_e32 v20, 16, v10
	s_wait_alu 0xf1ff
	s_delay_alu instid0(VALU_DEP_2)
	v_cndmask_b32_e64 v21, 0x7c00, v9, s0
	v_cmp_ne_u32_e64 s0, v18, v27
	v_and_or_b32 v10, 0x1ff, v14, v13
	v_add_nc_u32_e32 v18, 0xfffffc10, v26
	v_bfe_u32 v26, v14, 20, 11
	v_and_or_b32 v5, 0x8000, v20, v3
	s_wait_alu 0xf1ff
	v_cndmask_b32_e64 v9, 0, 1, s0
	v_cmp_ne_u32_e64 s0, 0, v22
	v_lshl_or_b32 v23, v18, 12, v19
	v_cmp_eq_u32_e64 s2, 0x40f, v18
	v_and_b32_e32 v5, 0xffff, v5
	v_or_b32_e32 v22, v25, v9
	s_wait_alu 0xf1ff
	v_cndmask_b32_e64 v13, 0, 1, s0
	v_cmp_ne_u32_e64 s0, 0, v10
	v_mul_f64_e32 v[9:10], s[10:11], v[16:17]
	v_cvt_f64_f32_e32 v[16:17], v0
	v_lshrrev_b32_e32 v0, 8, v14
	v_lshl_or_b32 v13, v13, 9, 0x7c00
	s_wait_alu 0xf1ff
	v_cndmask_b32_e64 v25, 0, 1, s0
	v_cmp_gt_i32_e64 s0, 1, v18
	v_lshrrev_b32_e32 v14, 16, v14
	s_delay_alu instid0(VALU_DEP_3) | instskip(SKIP_1) | instid1(VALU_DEP_3)
	v_and_or_b32 v0, 0xffe, v0, v25
	s_wait_alu 0xf1ff
	v_cndmask_b32_e64 v22, v23, v22, s0
	v_sub_nc_u32_e32 v23, 0x3f1, v26
	v_cmp_eq_u32_e64 s0, 0x40f, v24
	s_delay_alu instid0(VALU_DEP_3) | instskip(NEXT) | instid1(VALU_DEP_3)
	v_and_b32_e32 v24, 7, v22
	v_med3_i32 v23, v23, 0, 13
	s_wait_alu 0xf1ff
	s_delay_alu instid0(VALU_DEP_3)
	v_cndmask_b32_e64 v13, v21, v13, s0
	v_or_b32_e32 v21, 0x1000, v0
	v_lshrrev_b32_e32 v22, 2, v22
	v_cmp_lt_i32_e64 s0, 5, v24
	v_cmp_eq_u32_e64 s1, 3, v24
	v_and_or_b32 v13, 0x8000, v4, v13
	v_lshrrev_b32_e32 v20, v23, v21
	ds_load_2addr_b32 v[3:4], v6 offset0:22 offset1:85
	s_or_b32 s0, s1, s0
	v_lshl_or_b32 v5, v13, 16, v5
	v_lshlrev_b32_e32 v23, v23, v20
	s_wait_alu 0xfffe
	v_add_co_ci_u32_e64 v22, s0, 0, v22, s0
	s_delay_alu instid0(VALU_DEP_2) | instskip(SKIP_2) | instid1(VALU_DEP_2)
	v_cmp_ne_u32_e64 s0, v23, v21
	v_add_nc_u32_e32 v23, 0xfffffc10, v26
	s_wait_alu 0xf1ff
	v_cndmask_b32_e64 v21, 0, 1, s0
	v_cmp_gt_i32_e64 s0, 31, v18
	v_and_or_b32 v9, 0x1ff, v10, v9
	v_mul_f64_e32 v[16:17], s[10:11], v[16:17]
	v_bfe_u32 v24, v10, 20, 11
	v_or_b32_e32 v20, v20, v21
	s_wait_alu 0xf1ff
	v_cndmask_b32_e64 v13, 0x7c00, v22, s0
	v_cmp_ne_u32_e64 s0, 0, v19
	v_lshl_or_b32 v21, v23, 12, v0
	v_lshrrev_b32_e32 v22, 8, v10
	s_wait_alu 0xf1ff
	s_delay_alu instid0(VALU_DEP_3) | instskip(SKIP_1) | instid1(VALU_DEP_2)
	v_cndmask_b32_e64 v19, 0, 1, s0
	v_cmp_gt_i32_e64 s0, 1, v23
	v_lshl_or_b32 v19, v19, 9, 0x7c00
	s_wait_alu 0xf1ff
	s_delay_alu instid0(VALU_DEP_2)
	v_cndmask_b32_e64 v20, v21, v20, s0
	v_cmp_ne_u32_e64 s0, 0, v9
	s_wait_dscnt 0x0
	v_lshrrev_b32_e32 v21, 16, v3
	v_cndmask_b32_e64 v13, v13, v19, s2
	v_and_b32_e32 v26, 7, v20
	s_wait_alu 0xf1ff
	v_cndmask_b32_e64 v9, 0, 1, s0
	v_mul_f16_e32 v25, v28, v21
	v_lshrrev_b32_e32 v20, 2, v20
	v_add_co_u32 v11, s2, v11, s6
	s_delay_alu instid0(VALU_DEP_4)
	v_and_or_b32 v9, 0xffe, v22, v9
	v_sub_nc_u32_e32 v22, 0x3f1, v24
	v_fmac_f16_e64 v25, v128, v3
	v_cmp_lt_i32_e64 s0, 5, v26
	v_cmp_eq_u32_e64 s1, 3, v26
	v_or_b32_e32 v26, 0x1000, v9
	v_med3_i32 v22, v22, 0, 13
	v_cvt_f32_f16_e32 v25, v25
	v_mul_f16_e32 v3, v28, v3
	s_or_b32 s0, s1, s0
	v_add_co_ci_u32_e64 v12, s2, s7, v12, s2
	s_wait_alu 0xfffe
	v_add_co_ci_u32_e64 v20, s0, 0, v20, s0
	v_lshrrev_b32_e32 v27, v22, v26
	v_cmp_ne_u32_e64 s0, 0, v0
	v_cvt_f64_f32_e32 v[18:19], v25
	v_lshrrev_b32_e32 v25, 16, v15
	v_and_or_b32 v16, 0x1ff, v17, v16
	v_lshlrev_b32_e32 v15, v22, v27
	s_wait_alu 0xf1ff
	v_cndmask_b32_e64 v0, 0, 1, s0
	v_cmp_gt_i32_e64 s0, 31, v23
	v_fma_f16 v3, v128, v21, -v3
	v_add_nc_u32_e32 v22, 0xfffffc10, v24
	v_lshrrev_b32_e32 v24, 8, v17
	v_lshl_or_b32 v0, v0, 9, 0x7c00
	s_wait_alu 0xf1ff
	v_cndmask_b32_e64 v20, 0x7c00, v20, s0
	v_cmp_ne_u32_e64 s0, v15, v26
	v_cvt_f32_f16_e32 v3, v3
	v_lshl_or_b32 v21, v22, 12, v9
	v_bfe_u32 v26, v17, 20, 11
	v_and_or_b32 v13, 0x8000, v25, v13
	s_wait_alu 0xf1ff
	v_cndmask_b32_e64 v15, 0, 1, s0
	v_cmp_eq_u32_e64 s0, 0x40f, v23
	v_lshrrev_b32_e32 v17, 16, v17
	v_and_b32_e32 v25, 0xffff, v13
	s_wait_alu 0xf1ff
	s_delay_alu instid0(VALU_DEP_3) | instskip(SKIP_3) | instid1(VALU_DEP_4)
	v_cndmask_b32_e64 v0, v20, v0, s0
	v_cmp_ne_u32_e64 s0, 0, v16
	v_or_b32_e32 v20, v27, v15
	v_cvt_f64_f32_e32 v[15:16], v3
	v_and_or_b32 v0, 0x8000, v14, v0
	s_wait_alu 0xf1ff
	v_cndmask_b32_e64 v23, 0, 1, s0
	v_cmp_gt_i32_e64 s0, 1, v22
	s_delay_alu instid0(VALU_DEP_3) | instskip(SKIP_1) | instid1(VALU_DEP_2)
	v_lshl_or_b32 v0, v0, 16, v25
	s_wait_alu 0xf1ff
	v_cndmask_b32_e64 v3, v21, v20, s0
	v_and_or_b32 v20, 0xffe, v24, v23
	v_sub_nc_u32_e32 v21, 0x3f1, v26
	v_mul_f64_e32 v[13:14], s[10:11], v[18:19]
	s_delay_alu instid0(VALU_DEP_4) | instskip(NEXT) | instid1(VALU_DEP_4)
	v_and_b32_e32 v23, 7, v3
	v_or_b32_e32 v24, 0x1000, v20
	s_delay_alu instid0(VALU_DEP_4) | instskip(SKIP_1) | instid1(VALU_DEP_4)
	v_med3_i32 v21, v21, 0, 13
	v_lshrrev_b32_e32 v3, 2, v3
	v_cmp_lt_i32_e64 s0, 5, v23
	v_cmp_eq_u32_e64 s1, 3, v23
	s_delay_alu instid0(VALU_DEP_4) | instskip(SKIP_1) | instid1(VALU_DEP_3)
	v_lshrrev_b32_e32 v18, v21, v24
	v_lshrrev_b32_e32 v23, 16, v2
	s_or_b32 s0, s1, s0
	s_delay_alu instid0(VALU_DEP_2)
	v_lshlrev_b32_e32 v19, v21, v18
	s_wait_alu 0xfffe
	v_add_co_ci_u32_e64 v3, s0, 0, v3, s0
	v_cmp_ne_u32_e64 s0, 0, v9
	v_add_nc_u32_e32 v21, 0xfffffc10, v26
	v_lshrrev_b32_e32 v26, 16, v125
	s_wait_alu 0xf1ff
	s_delay_alu instid0(VALU_DEP_3) | instskip(SKIP_1) | instid1(VALU_DEP_3)
	v_cndmask_b32_e64 v9, 0, 1, s0
	v_cmp_ne_u32_e64 s0, v19, v24
	v_mul_f16_e32 v24, v26, v23
	v_mul_f64_e32 v[15:16], s[10:11], v[15:16]
	s_delay_alu instid0(VALU_DEP_4)
	v_lshl_or_b32 v9, v9, 9, 0x7c00
	s_wait_alu 0xf1ff
	v_cndmask_b32_e64 v19, 0, 1, s0
	v_cmp_gt_i32_e64 s0, 31, v22
	v_fmac_f16_e32 v24, v125, v2
	v_mul_f16_e32 v2, v26, v2
	s_delay_alu instid0(VALU_DEP_4)
	v_or_b32_e32 v18, v18, v19
	s_wait_alu 0xf1ff
	v_cndmask_b32_e64 v3, 0x7c00, v3, s0
	v_lshl_or_b32 v19, v21, 12, v20
	v_cmp_gt_i32_e64 s0, 1, v21
	v_fma_f16 v2, v125, v23, -v2
	s_wait_alu 0xf1ff
	s_delay_alu instid0(VALU_DEP_2)
	v_cndmask_b32_e64 v25, v19, v18, s0
	v_cmp_eq_u32_e64 s0, 0x40f, v22
	v_lshrrev_b32_e32 v18, 16, v10
	v_cvt_f32_f16_e32 v19, v24
	v_cvt_f32_f16_e32 v2, v2
	v_and_b32_e32 v22, 7, v25
	s_wait_alu 0xf1ff
	v_cndmask_b32_e64 v3, v3, v9, s0
	v_add_co_u32 v9, s0, v11, s4
	s_wait_alu 0xf1ff
	v_add_co_ci_u32_e64 v10, s0, s5, v12, s0
	s_delay_alu instid0(VALU_DEP_3)
	v_and_or_b32 v24, 0x8000, v18, v3
	v_and_or_b32 v3, 0x1ff, v14, v13
	v_cvt_f64_f32_e32 v[18:19], v19
	v_cmp_lt_i32_e64 s0, 5, v22
	v_cmp_eq_u32_e64 s1, 3, v22
	v_lshrrev_b32_e32 v13, 2, v25
	v_cmp_ne_u32_e64 s2, 0, v3
	v_lshrrev_b32_e32 v22, 8, v14
	v_bfe_u32 v25, v14, 20, 11
	s_or_b32 s0, s1, s0
	global_store_b32 v[11:12], v5, off
	global_store_b32 v[9:10], v0, off
	v_cndmask_b32_e64 v3, 0, 1, s2
	s_wait_alu 0xfffe
	v_add_co_ci_u32_e64 v13, s0, 0, v13, s0
	v_cmp_ne_u32_e64 s0, 0, v20
	v_and_or_b32 v15, 0x1ff, v16, v15
	v_and_or_b32 v22, 0xffe, v22, v3
	v_sub_nc_u32_e32 v3, 0x3f1, v25
	v_lshrrev_b32_e32 v14, 16, v14
	s_wait_alu 0xf1ff
	v_cndmask_b32_e64 v20, 0, 1, s0
	v_cmp_gt_i32_e64 s0, 31, v21
	v_or_b32_e32 v23, 0x1000, v22
	v_med3_i32 v26, v3, 0, 13
	v_cvt_f64_f32_e32 v[2:3], v2
	v_lshl_or_b32 v20, v20, 9, 0x7c00
	s_wait_alu 0xf1ff
	v_cndmask_b32_e64 v13, 0x7c00, v13, s0
	v_cmp_eq_u32_e64 s0, 0x40f, v21
	v_lshrrev_b32_e32 v27, v26, v23
	v_lshrrev_b32_e32 v21, 8, v16
	s_wait_alu 0xf1ff
	s_delay_alu instid0(VALU_DEP_3) | instskip(NEXT) | instid1(VALU_DEP_3)
	v_cndmask_b32_e64 v13, v13, v20, s0
	v_lshlrev_b32_e32 v20, v26, v27
	v_cmp_ne_u32_e64 s0, 0, v15
	v_bfe_u32 v26, v16, 20, 11
	s_delay_alu instid0(VALU_DEP_4)
	v_and_or_b32 v13, 0x8000, v17, v13
	v_and_b32_e32 v17, 0xffff, v24
	s_wait_alu 0xf1ff
	v_cndmask_b32_e64 v15, 0, 1, s0
	v_cmp_ne_u32_e64 s0, v20, v23
	v_add_nc_u32_e32 v23, 0xfffffc10, v25
	v_mul_f64_e32 v[18:19], s[10:11], v[18:19]
	v_lshl_or_b32 v5, v13, 16, v17
	v_and_or_b32 v15, 0xffe, v21, v15
	s_wait_alu 0xf1ff
	v_cndmask_b32_e64 v20, 0, 1, s0
	v_sub_nc_u32_e32 v21, 0x3f1, v26
	v_lshl_or_b32 v25, v23, 12, v22
	v_cmp_gt_i32_e64 s0, 1, v23
	v_add_nc_u32_e32 v13, 0xfffffc10, v26
	v_or_b32_e32 v20, v27, v20
	v_or_b32_e32 v27, 0x1000, v15
	v_med3_i32 v21, v21, 0, 13
	v_lshrrev_b32_e32 v17, 16, v1
	v_lshl_or_b32 v12, v13, 12, v15
	s_wait_alu 0xf1ff
	v_cndmask_b32_e64 v20, v25, v20, s0
	v_add_co_u32 v9, s0, v9, s6
	v_lshrrev_b32_e32 v24, v21, v27
	s_wait_alu 0xf1ff
	v_add_co_ci_u32_e64 v10, s0, s7, v10, s0
	v_and_b32_e32 v0, 7, v20
	v_mul_f64_e32 v[2:3], s[10:11], v[2:3]
	v_lshlrev_b32_e32 v11, v21, v24
	v_lshrrev_b32_e32 v26, 16, v124
	global_store_b32 v[9:10], v5, off
	v_cmp_lt_i32_e64 s0, 5, v0
	v_cmp_eq_u32_e64 s1, 3, v0
	v_lshrrev_b32_e32 v0, 2, v20
	v_cmp_ne_u32_e64 s2, v11, v27
	s_delay_alu instid0(VALU_DEP_3) | instskip(SKIP_1) | instid1(VALU_DEP_2)
	s_or_b32 s0, s1, s0
	s_wait_alu 0xfffe
	v_add_co_ci_u32_e64 v0, s0, 0, v0, s0
	s_delay_alu instid0(VALU_DEP_2) | instskip(SKIP_2) | instid1(VALU_DEP_3)
	v_cndmask_b32_e64 v11, 0, 1, s2
	v_cmp_ne_u32_e64 s0, 0, v22
	v_bfe_u32 v25, v19, 20, 11
	v_or_b32_e32 v11, v24, v11
	s_wait_alu 0xf1ff
	s_delay_alu instid0(VALU_DEP_3) | instskip(SKIP_3) | instid1(VALU_DEP_2)
	v_cndmask_b32_e64 v20, 0, 1, s0
	v_cmp_gt_i32_e64 s0, 1, v13
	v_lshrrev_b32_e32 v24, 8, v19
	s_wait_alu 0xf1ff
	v_cndmask_b32_e64 v21, v12, v11, s0
	v_and_or_b32 v12, 0x1ff, v19, v18
	v_cmp_gt_i32_e64 s0, 31, v23
	v_mul_f16_e32 v11, v26, v17
	v_lshl_or_b32 v18, v20, 9, 0x7c00
	v_and_b32_e32 v20, 7, v21
	v_lshrrev_b32_e32 v19, 16, v19
	s_wait_alu 0xf1ff
	v_cndmask_b32_e64 v0, 0x7c00, v0, s0
	v_cmp_ne_u32_e64 s0, 0, v12
	v_fmac_f16_e32 v11, v124, v1
	v_cmp_eq_u32_e64 s1, 3, v20
	v_mul_f16_e32 v1, v26, v1
	v_and_or_b32 v2, 0x1ff, v3, v2
	s_wait_alu 0xf1ff
	v_cndmask_b32_e64 v22, 0, 1, s0
	v_cmp_eq_u32_e64 s0, 0x40f, v23
	v_cvt_f32_f16_e32 v11, v11
	v_fma_f16 v1, v124, v17, -v1
	v_lshrrev_b32_e32 v17, 8, v3
	v_and_or_b32 v22, 0xffe, v24, v22
	s_wait_alu 0xf1ff
	v_cndmask_b32_e64 v18, v0, v18, s0
	v_sub_nc_u32_e32 v0, 0x3f1, v25
	v_cmp_lt_i32_e64 s0, 5, v20
	v_lshrrev_b32_e32 v20, 2, v21
	v_cvt_f64_f32_e32 v[11:12], v11
	v_or_b32_e32 v21, 0x1000, v22
	v_med3_i32 v0, v0, 0, 13
	s_or_b32 s0, s1, s0
	v_bfe_u32 v24, v3, 20, 11
	s_wait_alu 0xfffe
	v_add_co_ci_u32_e64 v20, s0, 0, v20, s0
	v_lshrrev_b32_e32 v23, v0, v21
	v_cmp_gt_i32_e64 s0, 31, v13
	v_cvt_f32_f16_e32 v1, v1
	v_add_nc_u32_e32 v25, 0xfffffc10, v25
	v_and_or_b32 v5, 0x8000, v14, v18
	v_lshlrev_b32_e32 v0, v0, v23
	s_wait_alu 0xf1ff
	v_cndmask_b32_e64 v20, 0x7c00, v20, s0
	v_cmp_ne_u32_e64 s0, 0, v2
	v_lshrrev_b32_e32 v3, 16, v3
	v_and_b32_e32 v5, 0xffff, v5
	s_wait_alu 0xf1ff
	s_delay_alu instid0(VALU_DEP_3) | instskip(SKIP_2) | instid1(VALU_DEP_3)
	v_cndmask_b32_e64 v2, 0, 1, s0
	v_cmp_ne_u32_e64 s0, v0, v21
	v_cvt_f64_f32_e32 v[0:1], v1
	v_and_or_b32 v2, 0xffe, v17, v2
	s_wait_alu 0xf1ff
	s_delay_alu instid0(VALU_DEP_3) | instskip(SKIP_3) | instid1(VALU_DEP_4)
	v_cndmask_b32_e64 v21, 0, 1, s0
	v_sub_nc_u32_e32 v17, 0x3f1, v24
	v_cmp_ne_u32_e64 s0, 0, v15
	v_or_b32_e32 v26, 0x1000, v2
	v_or_b32_e32 v21, v23, v21
	v_lshl_or_b32 v23, v25, 12, v22
	s_wait_alu 0xf1ff
	v_cndmask_b32_e64 v15, 0, 1, s0
	v_med3_i32 v17, v17, 0, 13
	v_cmp_gt_i32_e64 s0, 1, v25
	s_delay_alu instid0(VALU_DEP_3) | instskip(SKIP_2) | instid1(VALU_DEP_3)
	v_lshl_or_b32 v15, v15, 9, 0x7c00
	v_mul_f64_e32 v[11:12], s[10:11], v[11:12]
	s_wait_alu 0xf1ff
	v_cndmask_b32_e64 v21, v23, v21, s0
	v_lshrrev_b32_e32 v23, v17, v26
	v_cmp_eq_u32_e64 s0, 0x40f, v13
	s_delay_alu instid0(VALU_DEP_3) | instskip(NEXT) | instid1(VALU_DEP_3)
	v_lshrrev_b32_e32 v14, 2, v21
	v_lshlrev_b32_e32 v17, v17, v23
	s_wait_alu 0xf1ff
	s_delay_alu instid0(VALU_DEP_3)
	v_cndmask_b32_e64 v13, v20, v15, s0
	v_lshrrev_b32_e32 v15, 16, v16
	v_and_b32_e32 v16, 7, v21
	v_lshrrev_b32_e32 v21, 16, v4
	v_cmp_ne_u32_e64 s1, v17, v26
	v_add_nc_u32_e32 v17, 0xfffffc10, v24
	v_and_or_b32 v15, 0x8000, v15, v13
	v_cmp_lt_i32_e64 s0, 5, v16
	s_wait_alu 0xf1ff
	v_cndmask_b32_e64 v13, 0, 1, s1
	v_cmp_eq_u32_e64 s1, 3, v16
	v_lshl_or_b32 v16, v17, 12, v2
	v_lshl_or_b32 v5, v15, 16, v5
	s_delay_alu instid0(VALU_DEP_4) | instskip(NEXT) | instid1(VALU_DEP_4)
	v_or_b32_e32 v13, v23, v13
	s_or_b32 s0, s1, s0
	v_lshrrev_b32_e32 v23, 16, v122
	s_wait_alu 0xfffe
	v_add_co_ci_u32_e64 v18, s0, 0, v14, s0
	v_cmp_ne_u32_e64 s0, 0, v22
	s_delay_alu instid0(VALU_DEP_3) | instskip(SKIP_1) | instid1(VALU_DEP_2)
	v_mul_f16_e32 v15, v23, v21
	s_wait_alu 0xf1ff
	v_cndmask_b32_e64 v20, 0, 1, s0
	v_cmp_gt_i32_e64 s0, 1, v17
	s_delay_alu instid0(VALU_DEP_3) | instskip(SKIP_2) | instid1(VALU_DEP_3)
	v_fmac_f16_e32 v15, v122, v4
	v_mul_f16_e32 v4, v23, v4
	s_wait_alu 0xf1ff
	v_cndmask_b32_e64 v16, v16, v13, s0
	v_mul_f64_e32 v[13:14], s[10:11], v[0:1]
	v_cmp_gt_i32_e64 s0, 31, v25
	v_lshl_or_b32 v1, v20, 9, 0x7c00
	v_fma_f16 v4, v122, v21, -v4
	s_wait_alu 0xf1ff
	s_delay_alu instid0(VALU_DEP_3) | instskip(SKIP_4) | instid1(VALU_DEP_3)
	v_cndmask_b32_e64 v0, 0x7c00, v18, s0
	v_cmp_eq_u32_e64 s0, 0x40f, v25
	v_and_b32_e32 v18, 7, v16
	v_lshrrev_b32_e32 v25, 16, v119
	s_wait_alu 0xf1ff
	v_cndmask_b32_e64 v20, v0, v1, s0
	v_and_or_b32 v0, 0x1ff, v12, v11
	v_cvt_f32_f16_e32 v1, v15
	v_cmp_lt_i32_e64 s0, 5, v18
	v_cmp_eq_u32_e64 s1, 3, v18
	v_lshrrev_b32_e32 v11, 2, v16
	v_cmp_ne_u32_e64 s2, 0, v0
	v_cvt_f64_f32_e32 v[0:1], v1
	v_lshrrev_b32_e32 v16, 8, v12
	s_or_b32 s0, s1, s0
	v_bfe_u32 v18, v12, 20, 11
	s_wait_alu 0xfffe
	v_add_co_ci_u32_e64 v11, s0, 0, v11, s0
	v_cndmask_b32_e64 v15, 0, 1, s2
	v_cmp_ne_u32_e64 s0, 0, v2
	s_delay_alu instid0(VALU_DEP_2) | instskip(SKIP_1) | instid1(VALU_DEP_2)
	v_and_or_b32 v22, 0xffe, v16, v15
	s_wait_alu 0xf1ff
	v_cndmask_b32_e64 v2, 0, 1, s0
	v_sub_nc_u32_e32 v15, 0x3f1, v18
	v_cmp_gt_i32_e64 s0, 31, v17
	v_add_nc_u32_e32 v18, 0xfffffc10, v18
	v_or_b32_e32 v16, 0x1000, v22
	v_lshl_or_b32 v2, v2, 9, 0x7c00
	v_med3_i32 v15, v15, 0, 13
	s_wait_alu 0xf1ff
	v_cndmask_b32_e64 v11, 0x7c00, v11, s0
	v_cmp_eq_u32_e64 s0, 0x40f, v17
	v_and_or_b32 v13, 0x1ff, v14, v13
	v_and_or_b32 v17, 0x8000, v19, v20
	v_bfe_u32 v20, v14, 20, 11
	v_lshl_or_b32 v23, v18, 12, v22
	s_wait_alu 0xf1ff
	v_cndmask_b32_e64 v2, v11, v2, s0
	v_lshrrev_b32_e32 v11, v15, v16
	v_cmp_ne_u32_e64 s0, 0, v13
	v_and_b32_e32 v17, 0xffff, v17
	s_delay_alu instid0(VALU_DEP_4) | instskip(NEXT) | instid1(VALU_DEP_4)
	v_and_or_b32 v19, 0x8000, v3, v2
	v_lshlrev_b32_e32 v2, v15, v11
	v_cvt_f32_f16_e32 v3, v4
	s_wait_alu 0xf1ff
	v_cndmask_b32_e64 v13, 0, 1, s0
	v_lshrrev_b32_e32 v15, 8, v14
	v_lshl_or_b32 v17, v19, 16, v17
	v_cmp_ne_u32_e64 s0, v2, v16
	v_cvt_f64_f32_e32 v[3:4], v3
	s_delay_alu instid0(VALU_DEP_4)
	v_and_or_b32 v21, 0xffe, v15, v13
	v_sub_nc_u32_e32 v13, 0x3f1, v20
	s_wait_alu 0xf1ff
	v_cndmask_b32_e64 v2, 0, 1, s0
	v_mul_f64_e32 v[15:16], s[10:11], v[0:1]
	v_cmp_gt_i32_e64 s0, 1, v18
	v_or_b32_e32 v24, 0x1000, v21
	v_med3_i32 v13, v13, 0, 13
	v_or_b32_e32 v11, v11, v2
	ds_load_2addr_b32 v[1:2], v8 offset0:122 offset1:185
	s_wait_alu 0xf1ff
	v_cndmask_b32_e64 v0, v23, v11, s0
	v_add_co_u32 v8, s0, v9, s6
	v_lshrrev_b32_e32 v23, v13, v24
	s_wait_alu 0xf1ff
	v_add_co_ci_u32_e64 v9, s0, s7, v10, s0
	v_and_b32_e32 v19, 7, v0
	v_add_co_u32 v10, s0, v8, s4
	v_lshlrev_b32_e32 v13, v13, v23
	s_wait_alu 0xf1ff
	v_add_co_ci_u32_e64 v11, s0, s5, v9, s0
	v_cmp_lt_i32_e64 s0, 5, v19
	v_cmp_eq_u32_e64 s1, 3, v19
	v_lshrrev_b32_e32 v0, 2, v0
	v_cmp_ne_u32_e64 s2, v13, v24
	v_add_nc_u32_e32 v19, 0xfffffc10, v20
	s_wait_dscnt 0x0
	v_lshrrev_b32_e32 v20, 16, v1
	s_or_b32 s0, s1, s0
	s_wait_alu 0xfffe
	v_add_co_ci_u32_e64 v0, s0, 0, v0, s0
	v_cndmask_b32_e64 v13, 0, 1, s2
	v_cmp_ne_u32_e64 s0, 0, v22
	v_mul_f64_e32 v[3:4], s[10:11], v[3:4]
	v_mul_f16_e32 v24, v25, v20
	s_delay_alu instid0(VALU_DEP_4)
	v_or_b32_e32 v13, v23, v13
	v_lshl_or_b32 v23, v19, 12, v21
	s_wait_alu 0xf1ff
	v_cndmask_b32_e64 v22, 0, 1, s0
	v_cmp_gt_i32_e64 s0, 1, v19
	v_fmac_f16_e32 v24, v119, v1
	v_and_or_b32 v15, 0x1ff, v16, v15
	v_mul_f16_e32 v1, v25, v1
	s_wait_alu 0xf1ff
	v_cndmask_b32_e64 v23, v23, v13, s0
	v_cmp_gt_i32_e64 s0, 31, v18
	v_lshl_or_b32 v13, v22, 9, 0x7c00
	v_cvt_f32_f16_e32 v24, v24
	v_cmp_ne_u32_e64 s1, 0, v15
	v_and_b32_e32 v22, 7, v23
	s_wait_alu 0xf1ff
	v_cndmask_b32_e64 v0, 0x7c00, v0, s0
	v_cmp_eq_u32_e64 s0, 0x40f, v18
	v_lshrrev_b32_e32 v18, 16, v12
	v_cndmask_b32_e64 v15, 0, 1, s1
	v_cmp_eq_u32_e64 s1, 3, v22
	v_fma_f16 v1, v119, v20, -v1
	s_wait_alu 0xf1ff
	v_cndmask_b32_e64 v0, v0, v13, s0
	v_cvt_f64_f32_e32 v[12:13], v24
	v_cmp_lt_i32_e64 s0, 5, v22
	v_lshrrev_b32_e32 v24, 8, v16
	v_bfe_u32 v22, v16, 20, 11
	v_and_or_b32 v18, 0x8000, v18, v0
	v_lshrrev_b32_e32 v0, 2, v23
	s_or_b32 s0, s1, s0
	v_and_or_b32 v23, 0xffe, v24, v15
	v_sub_nc_u32_e32 v15, 0x3f1, v22
	v_add_nc_u32_e32 v22, 0xfffffc10, v22
	s_wait_alu 0xfffe
	v_add_co_ci_u32_e64 v0, s0, 0, v0, s0
	v_cmp_ne_u32_e64 s0, 0, v21
	v_or_b32_e32 v24, 0x1000, v23
	v_med3_i32 v15, v15, 0, 13
	v_and_or_b32 v3, 0x1ff, v4, v3
	v_bfe_u32 v25, v4, 20, 11
	s_wait_alu 0xf1ff
	v_cndmask_b32_e64 v21, 0, 1, s0
	v_cmp_gt_i32_e64 s0, 31, v19
	v_lshrrev_b32_e32 v20, v15, v24
	v_and_b32_e32 v18, 0xffff, v18
	v_sub_nc_u32_e32 v26, 0x3f1, v25
	v_lshl_or_b32 v21, v21, 9, 0x7c00
	s_wait_alu 0xf1ff
	v_cndmask_b32_e64 v0, 0x7c00, v0, s0
	v_cmp_eq_u32_e64 s0, 0x40f, v19
	v_lshrrev_b32_e32 v16, 16, v16
	v_med3_i32 v26, v26, 0, 13
	s_wait_alu 0xf1ff
	s_delay_alu instid0(VALU_DEP_3) | instskip(SKIP_4) | instid1(VALU_DEP_4)
	v_cndmask_b32_e64 v19, v0, v21, s0
	v_cvt_f32_f16_e32 v0, v1
	v_lshlrev_b32_e32 v1, v15, v20
	v_cmp_ne_u32_e64 s0, 0, v3
	v_lshrrev_b32_e32 v21, 16, v14
	v_cvt_f64_f32_e32 v[14:15], v0
	v_lshrrev_b32_e32 v0, 8, v4
	s_wait_alu 0xf1ff
	v_cndmask_b32_e64 v3, 0, 1, s0
	v_cmp_ne_u32_e64 s0, v1, v24
	v_mul_f64_e32 v[12:13], s[10:11], v[12:13]
	v_and_or_b32 v19, 0x8000, v21, v19
	s_delay_alu instid0(VALU_DEP_4)
	v_and_or_b32 v3, 0xffe, v0, v3
	s_wait_alu 0xf1ff
	v_cndmask_b32_e64 v24, 0, 1, s0
	ds_load_2addr_b32 v[0:1], v7 offset0:135 offset1:198
	v_cmp_gt_i32_e64 s0, 1, v22
	global_store_b32 v[8:9], v5, off
	global_store_b32 v[10:11], v17, off
	v_lshl_or_b32 v5, v19, 16, v18
	v_or_b32_e32 v7, v20, v24
	v_or_b32_e32 v24, 0x1000, v3
	v_lshl_or_b32 v20, v22, 12, v23
	s_delay_alu instid0(VALU_DEP_2) | instskip(SKIP_1) | instid1(VALU_DEP_2)
	v_lshrrev_b32_e32 v21, v26, v24
	s_wait_alu 0xf1ff
	v_cndmask_b32_e64 v20, v20, v7, s0
	v_add_co_u32 v7, s0, v10, s6
	s_wait_alu 0xf1ff
	v_add_co_ci_u32_e64 v8, s0, s7, v11, s0
	v_lshlrev_b32_e32 v17, v26, v21
	v_and_b32_e32 v9, 7, v20
	v_lshrrev_b32_e32 v19, 2, v20
	v_lshrrev_b32_e32 v26, 16, v118
	s_wait_dscnt 0x0
	v_lshrrev_b32_e32 v18, 16, v0
	v_cmp_ne_u32_e64 s1, v17, v24
	v_cmp_lt_i32_e64 s0, 5, v9
	v_add_nc_u32_e32 v17, 0xfffffc10, v25
	global_store_b32 v[7:8], v5, off
	v_mul_f16_e32 v11, v26, v18
	s_wait_alu 0xf1ff
	v_cndmask_b32_e64 v10, 0, 1, s1
	v_cmp_eq_u32_e64 s1, 3, v9
	s_delay_alu instid0(VALU_DEP_3) | instskip(NEXT) | instid1(VALU_DEP_3)
	v_fmac_f16_e32 v11, v118, v0
	v_or_b32_e32 v20, v21, v10
	s_delay_alu instid0(VALU_DEP_3)
	s_or_b32 s0, s1, s0
	v_mul_f64_e32 v[9:10], s[10:11], v[14:15]
	s_wait_alu 0xfffe
	v_add_co_ci_u32_e64 v14, s0, 0, v19, s0
	v_lshl_or_b32 v21, v17, 12, v3
	v_cmp_gt_i32_e64 s0, 1, v17
	v_and_or_b32 v19, 0x1ff, v13, v12
	v_cvt_f32_f16_e32 v11, v11
	v_bfe_u32 v24, v13, 20, 11
	v_mul_f16_e32 v0, v26, v0
	s_wait_alu 0xf1ff
	v_cndmask_b32_e64 v15, v21, v20, s0
	v_cmp_gt_i32_e64 s0, 31, v22
	v_lshrrev_b32_e32 v21, 8, v13
	v_cvt_f64_f32_e32 v[11:12], v11
	v_fma_f16 v0, v118, v18, -v0
	v_and_b32_e32 v20, 7, v15
	s_wait_alu 0xf1ff
	v_cndmask_b32_e64 v14, 0x7c00, v14, s0
	v_cmp_ne_u32_e64 s0, 0, v19
	v_lshrrev_b32_e32 v15, 2, v15
	v_cvt_f32_f16_e32 v0, v0
	v_cmp_eq_u32_e64 s1, 3, v20
	v_lshrrev_b32_e32 v13, 16, v13
	s_wait_alu 0xf1ff
	v_cndmask_b32_e64 v19, 0, 1, s0
	v_cmp_ne_u32_e64 s0, 0, v23
	v_lshrrev_b32_e32 v26, 16, v113
	s_delay_alu instid0(VALU_DEP_3) | instskip(SKIP_1) | instid1(VALU_DEP_3)
	v_and_or_b32 v19, 0xffe, v21, v19
	s_wait_alu 0xf1ff
	v_cndmask_b32_e64 v23, 0, 1, s0
	v_cmp_lt_i32_e64 s0, 5, v20
	v_sub_nc_u32_e32 v21, 0x3f1, v24
	v_add_nc_u32_e32 v24, 0xfffffc10, v24
	s_delay_alu instid0(VALU_DEP_4) | instskip(NEXT) | instid1(VALU_DEP_4)
	v_lshl_or_b32 v20, v23, 9, 0x7c00
	s_or_b32 s0, s1, s0
	v_or_b32_e32 v23, 0x1000, v19
	s_wait_alu 0xfffe
	v_add_co_ci_u32_e64 v15, s0, 0, v15, s0
	v_med3_i32 v21, v21, 0, 13
	v_cmp_eq_u32_e64 s0, 0x40f, v22
	v_and_or_b32 v9, 0x1ff, v10, v9
	s_delay_alu instid0(VALU_DEP_3) | instskip(SKIP_1) | instid1(VALU_DEP_3)
	v_lshrrev_b32_e32 v22, v21, v23
	s_wait_alu 0xf1ff
	v_cndmask_b32_e64 v20, v14, v20, s0
	v_cmp_gt_i32_e64 s0, 31, v17
	s_delay_alu instid0(VALU_DEP_3) | instskip(SKIP_2) | instid1(VALU_DEP_3)
	v_lshlrev_b32_e32 v14, v21, v22
	v_lshrrev_b32_e32 v21, 8, v10
	s_wait_alu 0xf1ff
	v_cndmask_b32_e64 v25, 0x7c00, v15, s0
	v_cmp_ne_u32_e64 s0, 0, v3
	v_mul_f64_e32 v[11:12], s[10:11], v[11:12]
	s_wait_alu 0xf1ff
	s_delay_alu instid0(VALU_DEP_2) | instskip(SKIP_3) | instid1(VALU_DEP_4)
	v_cndmask_b32_e64 v3, 0, 1, s0
	v_cmp_ne_u32_e64 s0, v14, v23
	v_bfe_u32 v23, v10, 20, 11
	v_cvt_f64_f32_e32 v[14:15], v0
	v_lshl_or_b32 v3, v3, 9, 0x7c00
	s_wait_alu 0xf1ff
	v_cndmask_b32_e64 v18, 0, 1, s0
	v_cmp_ne_u32_e64 s0, 0, v9
	s_delay_alu instid0(VALU_DEP_2) | instskip(SKIP_1) | instid1(VALU_DEP_2)
	v_or_b32_e32 v18, v22, v18
	s_wait_alu 0xf1ff
	v_cndmask_b32_e64 v9, 0, 1, s0
	v_cmp_eq_u32_e64 s0, 0x40f, v17
	s_delay_alu instid0(VALU_DEP_2)
	v_and_or_b32 v0, 0xffe, v21, v9
	v_sub_nc_u32_e32 v9, 0x3f1, v23
	v_lshl_or_b32 v21, v24, 12, v19
	s_wait_alu 0xf1ff
	v_cndmask_b32_e64 v17, v25, v3, s0
	v_cmp_gt_i32_e64 s0, 1, v24
	v_or_b32_e32 v22, 0x1000, v0
	v_med3_i32 v9, v9, 0, 13
	s_wait_alu 0xf1ff
	s_delay_alu instid0(VALU_DEP_3) | instskip(SKIP_1) | instid1(VALU_DEP_3)
	v_cndmask_b32_e64 v18, v21, v18, s0
	v_lshrrev_b32_e32 v21, 16, v4
	v_lshrrev_b32_e32 v25, v9, v22
	ds_load_2addr_b32 v[3:4], v6 offset0:148 offset1:211
	v_and_or_b32 v6, 0x8000, v16, v20
	v_and_b32_e32 v16, 7, v18
	v_and_or_b32 v20, 0x8000, v21, v17
	v_lshlrev_b32_e32 v5, v9, v25
	v_add_nc_u32_e32 v9, 0xfffffc10, v23
	v_and_b32_e32 v21, 0xffff, v6
	v_cmp_lt_i32_e64 s0, 5, v16
	v_cmp_eq_u32_e64 s1, 3, v16
	v_lshrrev_b32_e32 v6, 2, v18
	v_cmp_ne_u32_e64 s2, v5, v22
	v_and_or_b32 v11, 0x1ff, v12, v11
	v_lshrrev_b32_e32 v22, 8, v12
	s_or_b32 s0, s1, s0
	v_bfe_u32 v23, v12, 20, 11
	s_wait_alu 0xfffe
	v_add_co_ci_u32_e64 v16, s0, 0, v6, s0
	v_cndmask_b32_e64 v5, 0, 1, s2
	v_cmp_ne_u32_e64 s0, 0, v19
	v_lshl_or_b32 v6, v9, 12, v0
	s_wait_dscnt 0x0
	v_lshrrev_b32_e32 v18, 16, v3
	v_cmp_eq_u32_e64 s2, 0x40f, v24
	v_or_b32_e32 v5, v25, v5
	s_wait_alu 0xf1ff
	v_cndmask_b32_e64 v17, 0, 1, s0
	v_cmp_gt_i32_e64 s0, 1, v9
	v_lshrrev_b32_e32 v25, 16, v116
	v_lshl_or_b32 v20, v20, 16, v21
	v_lshrrev_b32_e32 v12, 16, v12
	v_lshl_or_b32 v17, v17, 9, 0x7c00
	s_wait_alu 0xf1ff
	v_cndmask_b32_e64 v19, v6, v5, s0
	v_mul_f64_e32 v[5:6], s[10:11], v[14:15]
	v_mul_f16_e32 v14, v25, v18
	v_cmp_gt_i32_e64 s0, 31, v24
	s_delay_alu instid0(VALU_DEP_4) | instskip(NEXT) | instid1(VALU_DEP_3)
	v_and_b32_e32 v15, 7, v19
	v_fmac_f16_e32 v14, v116, v3
	s_wait_alu 0xf1ff
	s_delay_alu instid0(VALU_DEP_3)
	v_cndmask_b32_e64 v16, 0x7c00, v16, s0
	v_cmp_ne_u32_e64 s0, 0, v11
	v_cmp_eq_u32_e64 s1, 3, v15
	v_mul_f16_e32 v3, v25, v3
	v_cvt_f32_f16_e32 v14, v14
	v_cndmask_b32_e64 v16, v16, v17, s2
	s_wait_alu 0xf1ff
	v_cndmask_b32_e64 v11, 0, 1, s0
	v_cmp_lt_i32_e64 s0, 5, v15
	v_lshrrev_b32_e32 v17, 2, v19
	v_cvt_f64_f32_e32 v[14:15], v14
	v_and_or_b32 v13, 0x8000, v13, v16
	v_and_or_b32 v11, 0xffe, v22, v11
	v_sub_nc_u32_e32 v22, 0x3f1, v23
	s_or_b32 s0, s1, s0
	v_fma_f16 v3, v116, v18, -v3
	s_wait_alu 0xfffe
	v_add_co_ci_u32_e64 v17, s0, 0, v17, s0
	v_or_b32_e32 v19, 0x1000, v11
	v_med3_i32 v22, v22, 0, 13
	v_cmp_ne_u32_e64 s0, 0, v0
	v_cvt_f32_f16_e32 v3, v3
	v_and_b32_e32 v13, 0xffff, v13
	s_delay_alu instid0(VALU_DEP_4) | instskip(SKIP_3) | instid1(VALU_DEP_3)
	v_lshrrev_b32_e32 v24, v22, v19
	s_wait_alu 0xf1ff
	v_cndmask_b32_e64 v0, 0, 1, s0
	v_cmp_gt_i32_e64 s0, 31, v9
	v_lshlrev_b32_e32 v16, v22, v24
	s_delay_alu instid0(VALU_DEP_3) | instskip(SKIP_1) | instid1(VALU_DEP_3)
	v_lshl_or_b32 v0, v0, 9, 0x7c00
	s_wait_alu 0xf1ff
	v_cndmask_b32_e64 v17, 0x7c00, v17, s0
	v_cmp_eq_u32_e64 s0, 0x40f, v9
	v_and_or_b32 v5, 0x1ff, v6, v5
	v_lshrrev_b32_e32 v18, 8, v6
	v_bfe_u32 v22, v6, 20, 11
	s_wait_alu 0xf1ff
	v_cndmask_b32_e64 v0, v17, v0, s0
	v_cmp_ne_u32_e64 s0, v16, v19
	v_add_nc_u32_e32 v19, 0xfffffc10, v23
	v_cvt_f64_f32_e32 v[16:17], v3
	v_lshrrev_b32_e32 v23, 16, v10
	s_wait_alu 0xf1ff
	v_cndmask_b32_e64 v9, 0, 1, s0
	v_cmp_ne_u32_e64 s0, 0, v5
	s_delay_alu instid0(VALU_DEP_3) | instskip(SKIP_1) | instid1(VALU_DEP_4)
	v_and_or_b32 v0, 0x8000, v23, v0
	v_lshrrev_b32_e32 v23, 16, v2
	v_or_b32_e32 v3, v24, v9
	s_wait_alu 0xf1ff
	v_cndmask_b32_e64 v5, 0, 1, s0
	v_lshl_or_b32 v9, v19, 12, v11
	v_cmp_gt_i32_e64 s0, 1, v19
	v_lshl_or_b32 v0, v0, 16, v13
	s_delay_alu instid0(VALU_DEP_4)
	v_and_or_b32 v5, 0xffe, v18, v5
	v_sub_nc_u32_e32 v18, 0x3f1, v22
	s_wait_alu 0xf1ff
	v_cndmask_b32_e64 v3, v9, v3, s0
	v_mul_f64_e32 v[9:10], s[10:11], v[14:15]
	v_add_co_u32 v7, s0, v7, s6
	v_or_b32_e32 v14, 0x1000, v5
	v_med3_i32 v15, v18, 0, 13
	v_and_b32_e32 v18, 7, v3
	s_wait_alu 0xf1ff
	v_add_co_ci_u32_e64 v8, s0, s7, v8, s0
	v_lshrrev_b32_e32 v3, 2, v3
	v_lshrrev_b32_e32 v21, v15, v14
	v_cmp_lt_i32_e64 s0, 5, v18
	v_cmp_eq_u32_e64 s1, 3, v18
	v_add_nc_u32_e32 v22, 0xfffffc10, v22
	s_delay_alu instid0(VALU_DEP_4) | instskip(SKIP_1) | instid1(VALU_DEP_4)
	v_lshlrev_b32_e32 v13, v15, v21
	v_mul_f16_e32 v15, v26, v23
	s_or_b32 s0, s1, s0
	s_wait_alu 0xfffe
	v_add_co_ci_u32_e64 v3, s0, 0, v3, s0
	v_cmp_ne_u32_e64 s2, v13, v14
	v_cmp_ne_u32_e64 s0, 0, v11
	v_fmac_f16_e32 v15, v113, v2
	s_wait_alu 0xf1ff
	s_delay_alu instid0(VALU_DEP_3) | instskip(NEXT) | instid1(VALU_DEP_3)
	v_cndmask_b32_e64 v13, 0, 1, s2
	v_cndmask_b32_e64 v11, 0, 1, s0
	v_cmp_gt_i32_e64 s0, 1, v22
	v_cvt_f32_f16_e32 v15, v15
	s_delay_alu instid0(VALU_DEP_4) | instskip(SKIP_2) | instid1(VALU_DEP_4)
	v_or_b32_e32 v18, v21, v13
	v_mul_f64_e32 v[13:14], s[10:11], v[16:17]
	v_lshl_or_b32 v21, v22, 12, v5
	v_cvt_f64_f32_e32 v[15:16], v15
	v_lshl_or_b32 v11, v11, 9, 0x7c00
	s_wait_alu 0xf1ff
	s_delay_alu instid0(VALU_DEP_3) | instskip(SKIP_2) | instid1(VALU_DEP_3)
	v_cndmask_b32_e64 v21, v21, v18, s0
	v_cmp_gt_i32_e64 s0, 31, v19
	v_and_or_b32 v9, 0x1ff, v10, v9
	v_and_b32_e32 v24, 7, v21
	s_wait_alu 0xf1ff
	s_delay_alu instid0(VALU_DEP_3)
	v_cndmask_b32_e64 v3, 0x7c00, v3, s0
	v_add_co_u32 v17, s0, v7, s4
	s_wait_alu 0xf1ff
	v_add_co_ci_u32_e64 v18, s0, s5, v8, s0
	v_cmp_eq_u32_e64 s0, 0x40f, v19
	v_cmp_ne_u32_e64 s1, 0, v9
	v_lshrrev_b32_e32 v21, 2, v21
	v_bfe_u32 v19, v10, 20, 11
	global_store_b32 v[7:8], v20, off
	global_store_b32 v[17:18], v0, off
	s_wait_alu 0xf1ff
	v_cndmask_b32_e64 v3, v3, v11, s0
	v_cmp_lt_i32_e64 s0, 5, v24
	v_cndmask_b32_e64 v9, 0, 1, s1
	v_cmp_eq_u32_e64 s1, 3, v24
	v_lshrrev_b32_e32 v11, 8, v10
	v_and_or_b32 v12, 0x8000, v12, v3
	v_lshrrev_b32_e32 v10, 16, v10
	s_delay_alu instid0(VALU_DEP_4) | instskip(NEXT) | instid1(VALU_DEP_3)
	s_or_b32 s0, s1, s0
	v_and_or_b32 v9, 0xffe, v11, v9
	s_wait_alu 0xfffe
	v_add_co_ci_u32_e64 v21, s0, 0, v21, s0
	v_cmp_ne_u32_e64 s0, 0, v5
	v_sub_nc_u32_e32 v11, 0x3f1, v19
	v_or_b32_e32 v24, 0x1000, v9
	v_and_b32_e32 v12, 0xffff, v12
	v_and_or_b32 v3, 0x1ff, v14, v13
	s_wait_alu 0xf1ff
	v_cndmask_b32_e64 v5, 0, 1, s0
	v_cmp_gt_i32_e64 s0, 31, v22
	v_med3_i32 v11, v11, 0, 13
	s_delay_alu instid0(VALU_DEP_3) | instskip(SKIP_1) | instid1(VALU_DEP_3)
	v_lshl_or_b32 v5, v5, 9, 0x7c00
	s_wait_alu 0xf1ff
	v_cndmask_b32_e64 v21, 0x7c00, v21, s0
	v_cmp_eq_u32_e64 s0, 0x40f, v22
	v_lshrrev_b32_e32 v25, v11, v24
	v_lshrrev_b32_e32 v22, 8, v14
	s_wait_alu 0xf1ff
	s_delay_alu instid0(VALU_DEP_3)
	v_cndmask_b32_e64 v13, v21, v5, s0
	v_cmp_ne_u32_e64 s0, 0, v3
	v_lshrrev_b32_e32 v21, 16, v6
	v_lshlrev_b32_e32 v5, v11, v25
	v_mul_f16_e32 v6, v26, v2
	v_bfe_u32 v26, v14, 20, 11
	s_wait_alu 0xf1ff
	v_cndmask_b32_e64 v11, 0, 1, s0
	v_mul_f64_e32 v[2:3], s[10:11], v[15:16]
	v_cmp_ne_u32_e64 s0, v5, v24
	v_fma_f16 v6, v113, v23, -v6
	v_add_nc_u32_e32 v15, 0xfffffc10, v19
	v_and_or_b32 v16, 0xffe, v22, v11
	v_sub_nc_u32_e32 v11, 0x3f1, v26
	s_wait_alu 0xf1ff
	v_cndmask_b32_e64 v5, 0, 1, s0
	v_cvt_f32_f16_e32 v6, v6
	v_lshl_or_b32 v22, v15, 12, v9
	v_or_b32_e32 v23, 0x1000, v16
	v_med3_i32 v11, v11, 0, 13
	v_or_b32_e32 v19, v25, v5
	v_cvt_f64_f32_e32 v[5:6], v6
	v_and_or_b32 v13, 0x8000, v21, v13
	v_cmp_gt_i32_e64 s0, 1, v15
	v_lshrrev_b32_e32 v21, v11, v23
	v_lshrrev_b32_e32 v24, 16, v111
	v_cmp_eq_u32_e64 s2, 0x40f, v15
	v_lshl_or_b32 v13, v13, 16, v12
	s_wait_alu 0xf1ff
	v_cndmask_b32_e64 v19, v22, v19, s0
	v_lshlrev_b32_e32 v11, v11, v21
	v_add_co_u32 v7, s0, v17, s6
	s_wait_alu 0xf1ff
	v_add_co_ci_u32_e64 v8, s0, s7, v18, s0
	v_and_b32_e32 v0, 7, v19
	v_cmp_ne_u32_e64 s1, v11, v23
	v_lshrrev_b32_e32 v17, 16, v1
	v_add_nc_u32_e32 v18, 0xfffffc10, v26
	s_delay_alu instid0(VALU_DEP_4)
	v_cmp_lt_i32_e64 s0, 5, v0
	s_wait_alu 0xf1ff
	v_cndmask_b32_e64 v11, 0, 1, s1
	v_cmp_eq_u32_e64 s1, 3, v0
	v_lshrrev_b32_e32 v0, 2, v19
	v_mul_f16_e32 v12, v24, v17
	v_lshl_or_b32 v19, v18, 12, v16
	v_or_b32_e32 v11, v21, v11
	s_or_b32 s0, s1, s0
	v_and_or_b32 v2, 0x1ff, v3, v2
	s_wait_alu 0xfffe
	v_add_co_ci_u32_e64 v0, s0, 0, v0, s0
	v_cmp_gt_i32_e64 s0, 1, v18
	v_fmac_f16_e32 v12, v111, v1
	v_lshrrev_b32_e32 v20, 8, v3
	v_bfe_u32 v21, v3, 20, 11
	s_wait_alu 0xf1ff
	v_cndmask_b32_e64 v19, v19, v11, s0
	v_cmp_ne_u32_e64 s0, 0, v2
	v_cvt_f32_f16_e32 v12, v12
	v_mul_f64_e32 v[5:6], s[10:11], v[5:6]
	s_delay_alu instid0(VALU_DEP_4)
	v_and_b32_e32 v22, 7, v19
	s_wait_alu 0xf1ff
	v_cndmask_b32_e64 v2, 0, 1, s0
	v_cmp_ne_u32_e64 s0, 0, v9
	v_cvt_f64_f32_e32 v[11:12], v12
	v_lshrrev_b32_e32 v19, 2, v19
	v_cmp_eq_u32_e64 s1, 3, v22
	v_and_or_b32 v2, 0xffe, v20, v2
	s_wait_alu 0xf1ff
	v_cndmask_b32_e64 v9, 0, 1, s0
	v_cmp_gt_i32_e64 s0, 31, v15
	v_sub_nc_u32_e32 v20, 0x3f1, v21
	v_add_nc_u32_e32 v21, 0xfffffc10, v21
	v_or_b32_e32 v23, 0x1000, v2
	v_lshl_or_b32 v9, v9, 9, 0x7c00
	s_wait_alu 0xf1ff
	v_cndmask_b32_e64 v0, 0x7c00, v0, s0
	v_cmp_lt_i32_e64 s0, 5, v22
	v_med3_i32 v20, v20, 0, 13
	v_lshrrev_b32_e32 v22, 16, v110
	s_delay_alu instid0(VALU_DEP_4) | instskip(NEXT) | instid1(VALU_DEP_4)
	v_cndmask_b32_e64 v0, v0, v9, s2
	s_or_b32 s0, s1, s0
	s_delay_alu instid0(VALU_DEP_3) | instskip(SKIP_3) | instid1(VALU_DEP_3)
	v_lshrrev_b32_e32 v9, v20, v23
	s_wait_alu 0xfffe
	v_add_co_ci_u32_e64 v15, s0, 0, v19, s0
	v_cmp_ne_u32_e64 s0, 0, v16
	v_lshlrev_b32_e32 v19, v20, v9
	v_and_or_b32 v20, 0x8000, v10, v0
	s_wait_alu 0xf1ff
	s_delay_alu instid0(VALU_DEP_3) | instskip(SKIP_1) | instid1(VALU_DEP_2)
	v_cndmask_b32_e64 v16, 0, 1, s0
	v_cmp_gt_i32_e64 s0, 31, v18
	v_lshl_or_b32 v16, v16, 9, 0x7c00
	s_wait_alu 0xf1ff
	s_delay_alu instid0(VALU_DEP_2) | instskip(SKIP_3) | instid1(VALU_DEP_2)
	v_cndmask_b32_e64 v15, 0x7c00, v15, s0
	v_cmp_ne_u32_e64 s0, v19, v23
	v_and_or_b32 v5, 0x1ff, v6, v5
	s_wait_alu 0xf1ff
	v_cndmask_b32_e64 v19, 0, 1, s0
	v_cmp_eq_u32_e64 s0, 0x40f, v18
	v_and_b32_e32 v18, 0xffff, v20
	s_delay_alu instid0(VALU_DEP_3) | instskip(SKIP_1) | instid1(VALU_DEP_3)
	v_or_b32_e32 v9, v9, v19
	s_wait_alu 0xf1ff
	v_cndmask_b32_e64 v10, v15, v16, s0
	v_mul_f16_e32 v15, v24, v1
	v_mul_f64_e32 v[0:1], s[10:11], v[11:12]
	v_lshl_or_b32 v11, v21, 12, v2
	v_lshrrev_b32_e32 v12, 16, v14
	v_cmp_gt_i32_e64 s0, 1, v21
	v_fma_f16 v14, v111, v17, -v15
	v_bfe_u32 v15, v6, 20, 11
	v_lshrrev_b32_e32 v17, 16, v4
	v_and_or_b32 v12, 0x8000, v12, v10
	s_wait_alu 0xf1ff
	v_cndmask_b32_e64 v11, v11, v9, s0
	v_cmp_ne_u32_e64 s0, 0, v5
	v_cvt_f32_f16_e32 v9, v14
	v_lshrrev_b32_e32 v14, 8, v6
	v_mul_f16_e32 v20, v22, v17
	v_and_b32_e32 v16, 7, v11
	s_wait_alu 0xf1ff
	v_cndmask_b32_e64 v5, 0, 1, s0
	v_cvt_f64_f32_e32 v[9:10], v9
	v_lshrrev_b32_e32 v11, 2, v11
	v_fmac_f16_e32 v20, v110, v4
	v_cmp_lt_i32_e64 s0, 5, v16
	v_and_or_b32 v14, 0xffe, v14, v5
	v_sub_nc_u32_e32 v5, 0x3f1, v15
	v_cmp_eq_u32_e64 s1, 3, v16
	v_lshl_or_b32 v16, v12, 16, v18
	v_cvt_f32_f16_e32 v12, v20
	v_or_b32_e32 v19, 0x1000, v14
	v_med3_i32 v5, v5, 0, 13
	s_or_b32 s0, s1, s0
	v_add_nc_u32_e32 v15, 0xfffffc10, v15
	s_wait_alu 0xfffe
	v_add_co_ci_u32_e64 v11, s0, 0, v11, s0
	v_lshrrev_b32_e32 v18, v5, v19
	v_cmp_ne_u32_e64 s0, 0, v2
	v_mul_f16_e32 v4, v22, v4
	v_lshl_or_b32 v23, v15, 12, v14
	v_lshrrev_b32_e32 v6, 16, v6
	v_lshlrev_b32_e32 v5, v5, v18
	s_wait_alu 0xf1ff
	v_cndmask_b32_e64 v2, 0, 1, s0
	v_cmp_gt_i32_e64 s0, 31, v21
	v_and_or_b32 v0, 0x1ff, v1, v0
	v_bfe_u32 v22, v1, 20, 11
	v_fma_f16 v17, v110, v17, -v4
	v_lshl_or_b32 v2, v2, 9, 0x7c00
	s_wait_alu 0xf1ff
	v_cndmask_b32_e64 v20, 0x7c00, v11, s0
	v_cvt_f64_f32_e32 v[11:12], v12
	v_cmp_ne_u32_e64 s0, v5, v19
	v_lshrrev_b32_e32 v19, 8, v1
	v_lshrrev_b32_e32 v1, 16, v1
	s_wait_alu 0xf1ff
	s_delay_alu instid0(VALU_DEP_3) | instskip(SKIP_1) | instid1(VALU_DEP_2)
	v_cndmask_b32_e64 v5, 0, 1, s0
	v_cmp_ne_u32_e64 s0, 0, v0
	v_or_b32_e32 v18, v18, v5
	s_wait_alu 0xf1ff
	s_delay_alu instid0(VALU_DEP_2)
	v_cndmask_b32_e64 v0, 0, 1, s0
	v_cmp_gt_i32_e64 s0, 1, v15
	v_mul_f64_e32 v[4:5], s[10:11], v[9:10]
	v_sub_nc_u32_e32 v9, 0x3f1, v22
	v_cvt_f32_f16_e32 v10, v17
	v_and_or_b32 v0, 0xffe, v19, v0
	s_wait_alu 0xf1ff
	v_cndmask_b32_e64 v17, v23, v18, s0
	v_cmp_eq_u32_e64 s0, 0x40f, v21
	v_med3_i32 v19, v9, 0, 13
	v_cvt_f64_f32_e32 v[9:10], v10
	v_or_b32_e32 v18, 0x1000, v0
	v_and_b32_e32 v23, 7, v17
	s_wait_alu 0xf1ff
	v_cndmask_b32_e64 v20, v20, v2, s0
	v_add_co_u32 v2, s0, v7, s6
	v_lshrrev_b32_e32 v24, v19, v18
	v_lshrrev_b32_e32 v21, 16, v3
	s_wait_alu 0xf1ff
	v_add_co_ci_u32_e64 v3, s0, s7, v8, s0
	v_cmp_lt_i32_e64 s0, 5, v23
	v_cmp_eq_u32_e64 s1, 3, v23
	v_lshrrev_b32_e32 v17, 2, v17
	v_lshlrev_b32_e32 v19, v19, v24
	v_and_or_b32 v20, 0x8000, v21, v20
	s_delay_alu instid0(VALU_DEP_4)
	s_or_b32 s0, s1, s0
	v_mul_f64_e32 v[11:12], s[10:11], v[11:12]
	s_wait_alu 0xfffe
	v_add_co_ci_u32_e64 v17, s0, 0, v17, s0
	v_cmp_ne_u32_e64 s2, v19, v18
	v_cmp_ne_u32_e64 s0, 0, v14
	v_add_nc_u32_e32 v19, 0xfffffc10, v22
	s_wait_alu 0xf1ff
	s_delay_alu instid0(VALU_DEP_3) | instskip(NEXT) | instid1(VALU_DEP_3)
	v_cndmask_b32_e64 v18, 0, 1, s2
	v_cndmask_b32_e64 v14, 0, 1, s0
	v_cmp_gt_i32_e64 s0, 31, v15
	v_lshl_or_b32 v21, v19, 12, v0
	s_delay_alu instid0(VALU_DEP_4) | instskip(NEXT) | instid1(VALU_DEP_4)
	v_or_b32_e32 v18, v24, v18
	v_lshl_or_b32 v14, v14, 9, 0x7c00
	s_wait_alu 0xf1ff
	v_cndmask_b32_e64 v17, 0x7c00, v17, s0
	v_cmp_gt_i32_e64 s0, 1, v19
	v_and_or_b32 v4, 0x1ff, v5, v4
	s_wait_alu 0xf1ff
	s_delay_alu instid0(VALU_DEP_2) | instskip(SKIP_3) | instid1(VALU_DEP_4)
	v_cndmask_b32_e64 v18, v21, v18, s0
	v_cmp_eq_u32_e64 s0, 0x40f, v15
	v_mul_f64_e32 v[9:10], s[10:11], v[9:10]
	v_bfe_u32 v21, v5, 20, 11
	v_and_b32_e32 v15, 7, v18
	s_wait_alu 0xf1ff
	v_cndmask_b32_e64 v14, v17, v14, s0
	v_cmp_ne_u32_e64 s0, 0, v4
	v_lshrrev_b32_e32 v17, 8, v5
	v_lshrrev_b32_e32 v5, 16, v5
	v_cmp_eq_u32_e64 s1, 3, v15
	v_and_or_b32 v6, 0x8000, v6, v14
	v_and_b32_e32 v14, 0xffff, v20
	s_wait_alu 0xf1ff
	v_cndmask_b32_e64 v4, 0, 1, s0
	v_cmp_lt_i32_e64 s0, 5, v15
	s_delay_alu instid0(VALU_DEP_3) | instskip(SKIP_1) | instid1(VALU_DEP_4)
	v_lshl_or_b32 v6, v6, 16, v14
	v_lshrrev_b32_e32 v14, 2, v18
	v_and_or_b32 v4, 0xffe, v17, v4
	v_sub_nc_u32_e32 v17, 0x3f1, v21
	s_or_b32 s0, s1, s0
	v_and_or_b32 v11, 0x1ff, v12, v11
	s_wait_alu 0xfffe
	v_add_co_ci_u32_e64 v14, s0, 0, v14, s0
	v_or_b32_e32 v15, 0x1000, v4
	v_med3_i32 v17, v17, 0, 13
	v_cmp_ne_u32_e64 s0, 0, v0
	v_lshrrev_b32_e32 v20, 8, v12
	v_bfe_u32 v22, v12, 20, 11
	v_lshrrev_b32_e32 v12, 16, v12
	v_lshrrev_b32_e32 v18, v17, v15
	s_wait_alu 0xf1ff
	v_cndmask_b32_e64 v0, 0, 1, s0
	v_cmp_gt_i32_e64 s0, 31, v19
	s_delay_alu instid0(VALU_DEP_3) | instskip(NEXT) | instid1(VALU_DEP_3)
	v_lshlrev_b32_e32 v17, v17, v18
	v_lshl_or_b32 v0, v0, 9, 0x7c00
	s_wait_alu 0xf1ff
	s_delay_alu instid0(VALU_DEP_3) | instskip(SKIP_3) | instid1(VALU_DEP_2)
	v_cndmask_b32_e64 v14, 0x7c00, v14, s0
	v_cmp_ne_u32_e64 s0, 0, v11
	v_and_or_b32 v9, 0x1ff, v10, v9
	s_wait_alu 0xf1ff
	v_cndmask_b32_e64 v11, 0, 1, s0
	v_cmp_ne_u32_e64 s0, v17, v15
	v_add_nc_u32_e32 v17, 0xfffffc10, v21
	v_bfe_u32 v21, v10, 20, 11
	s_delay_alu instid0(VALU_DEP_4) | instskip(SKIP_4) | instid1(VALU_DEP_2)
	v_and_or_b32 v11, 0xffe, v20, v11
	s_wait_alu 0xf1ff
	v_cndmask_b32_e64 v15, 0, 1, s0
	v_sub_nc_u32_e32 v20, 0x3f1, v22
	v_cmp_eq_u32_e64 s0, 0x40f, v19
	v_med3_i32 v19, v20, 0, 13
	s_wait_alu 0xf1ff
	s_delay_alu instid0(VALU_DEP_2)
	v_cndmask_b32_e64 v0, v14, v0, s0
	v_or_b32_e32 v14, v18, v15
	v_lshl_or_b32 v15, v17, 12, v4
	v_or_b32_e32 v18, 0x1000, v11
	v_cmp_gt_i32_e64 s0, 1, v17
	v_lshrrev_b32_e32 v20, 8, v10
	v_and_or_b32 v0, 0x8000, v1, v0
	s_wait_alu 0xf1ff
	s_delay_alu instid0(VALU_DEP_3) | instskip(SKIP_3) | instid1(VALU_DEP_4)
	v_cndmask_b32_e64 v14, v15, v14, s0
	v_lshrrev_b32_e32 v15, v19, v18
	v_cmp_ne_u32_e64 s0, 0, v9
	v_and_b32_e32 v0, 0xffff, v0
	v_and_b32_e32 v23, 7, v14
	s_delay_alu instid0(VALU_DEP_4)
	v_lshlrev_b32_e32 v19, v19, v15
	s_wait_alu 0xf1ff
	v_cndmask_b32_e64 v9, 0, 1, s0
	v_lshrrev_b32_e32 v14, 2, v14
	v_cmp_lt_i32_e64 s0, 5, v23
	v_cmp_ne_u32_e64 s1, v19, v18
	s_delay_alu instid0(VALU_DEP_4)
	v_and_or_b32 v1, 0xffe, v20, v9
	v_sub_nc_u32_e32 v9, 0x3f1, v21
	v_add_nc_u32_e32 v20, 0xfffffc10, v22
	s_wait_alu 0xf1ff
	v_cndmask_b32_e64 v18, 0, 1, s1
	v_cmp_eq_u32_e64 s1, 3, v23
	v_or_b32_e32 v19, 0x1000, v1
	v_med3_i32 v9, v9, 0, 13
	v_lshl_or_b32 v22, v20, 12, v11
	v_or_b32_e32 v15, v15, v18
	s_or_b32 s0, s1, s0
	s_wait_alu 0xfffe
	v_add_co_ci_u32_e64 v14, s0, 0, v14, s0
	v_lshrrev_b32_e32 v18, v9, v19
	v_cmp_gt_i32_e64 s0, 1, v20
	s_delay_alu instid0(VALU_DEP_2) | instskip(SKIP_1) | instid1(VALU_DEP_2)
	v_lshlrev_b32_e32 v9, v9, v18
	s_wait_alu 0xf1ff
	v_cndmask_b32_e64 v15, v22, v15, s0
	v_cmp_ne_u32_e64 s0, 0, v4
	s_wait_alu 0xf1ff
	s_delay_alu instid0(VALU_DEP_1) | instskip(SKIP_3) | instid1(VALU_DEP_4)
	v_cndmask_b32_e64 v4, 0, 1, s0
	v_cmp_ne_u32_e64 s0, v9, v19
	v_add_nc_u32_e32 v19, 0xfffffc10, v21
	v_and_b32_e32 v21, 7, v15
	v_lshl_or_b32 v4, v4, 9, 0x7c00
	s_wait_alu 0xf1ff
	v_cndmask_b32_e64 v9, 0, 1, s0
	v_cmp_gt_i32_e64 s0, 31, v17
	v_cmp_gt_i32_e64 s2, 1, v19
	v_cmp_eq_u32_e64 s1, 3, v21
	s_delay_alu instid0(VALU_DEP_4) | instskip(SKIP_4) | instid1(VALU_DEP_3)
	v_or_b32_e32 v9, v18, v9
	v_lshl_or_b32 v18, v19, 12, v1
	s_wait_alu 0xf1ff
	v_cndmask_b32_e64 v14, 0x7c00, v14, s0
	v_cmp_lt_i32_e64 s0, 5, v21
	v_cndmask_b32_e64 v9, v18, v9, s2
	v_cmp_eq_u32_e64 s2, 0x40f, v17
	s_delay_alu instid0(VALU_DEP_3) | instskip(NEXT) | instid1(VALU_DEP_1)
	s_or_b32 s0, s1, s0
	v_cndmask_b32_e64 v4, v14, v4, s2
	v_lshrrev_b32_e32 v14, 2, v15
	v_and_b32_e32 v15, 7, v9
	v_lshrrev_b32_e32 v9, 2, v9
	v_cmp_gt_i32_e64 s2, 31, v20
	s_wait_alu 0xfffe
	v_add_co_ci_u32_e64 v14, s0, 0, v14, s0
	v_cmp_ne_u32_e64 s0, 0, v11
	v_cmp_eq_u32_e64 s1, 3, v15
	s_wait_alu 0xf1ff
	s_delay_alu instid0(VALU_DEP_3) | instskip(NEXT) | instid1(VALU_DEP_3)
	v_cndmask_b32_e64 v14, 0x7c00, v14, s2
	v_cndmask_b32_e64 v11, 0, 1, s0
	v_cmp_lt_i32_e64 s0, 5, v15
	s_delay_alu instid0(VALU_DEP_2) | instskip(NEXT) | instid1(VALU_DEP_2)
	v_lshl_or_b32 v11, v11, 9, 0x7c00
	s_or_b32 s0, s1, s0
	s_wait_alu 0xfffe
	v_add_co_ci_u32_e64 v9, s0, 0, v9, s0
	v_cmp_ne_u32_e64 s0, 0, v1
	s_wait_alu 0xf1ff
	s_delay_alu instid0(VALU_DEP_1) | instskip(SKIP_1) | instid1(VALU_DEP_2)
	v_cndmask_b32_e64 v1, 0, 1, s0
	v_cmp_eq_u32_e64 s0, 0x40f, v20
	v_lshl_or_b32 v1, v1, 9, 0x7c00
	s_wait_alu 0xf1ff
	s_delay_alu instid0(VALU_DEP_2) | instskip(SKIP_2) | instid1(VALU_DEP_3)
	v_cndmask_b32_e64 v11, v14, v11, s0
	v_cmp_gt_i32_e64 s0, 31, v19
	v_and_or_b32 v14, 0x8000, v5, v4
	v_and_or_b32 v11, 0x8000, v12, v11
	s_wait_alu 0xf1ff
	s_delay_alu instid0(VALU_DEP_3) | instskip(SKIP_3) | instid1(VALU_DEP_2)
	v_cndmask_b32_e64 v9, 0x7c00, v9, s0
	v_cmp_eq_u32_e64 s0, 0x40f, v19
	v_lshl_or_b32 v12, v14, 16, v0
	s_wait_alu 0xf1ff
	v_cndmask_b32_e64 v1, v9, v1, s0
	v_lshrrev_b32_e32 v9, 16, v10
	v_add_co_u32 v4, s0, v2, s4
	s_wait_alu 0xf1ff
	v_add_co_ci_u32_e64 v5, s0, s5, v3, s0
	s_delay_alu instid0(VALU_DEP_3) | instskip(SKIP_4) | instid1(VALU_DEP_3)
	v_and_or_b32 v0, 0x8000, v9, v1
	v_and_b32_e32 v1, 0xffff, v11
	v_add_co_u32 v9, s0, v4, s6
	s_wait_alu 0xf1ff
	v_add_co_ci_u32_e64 v10, s0, s7, v5, s0
	v_lshl_or_b32 v11, v0, 16, v1
	s_delay_alu instid0(VALU_DEP_3) | instskip(SKIP_1) | instid1(VALU_DEP_3)
	v_add_co_u32 v0, s0, v9, s6
	s_wait_alu 0xf1ff
	v_add_co_ci_u32_e64 v1, s0, s7, v10, s0
	global_store_b32 v[7:8], v13, off
	global_store_b32 v[2:3], v16, off
	;; [unrolled: 1-line block ×5, first 2 shown]
	s_and_b32 exec_lo, exec_lo, vcc_lo
	s_cbranch_execz .LBB0_31
; %bb.30:
	global_load_b32 v2, v[56:57], off offset:2016
	ds_load_b32 v3, v109 offset:2016
	ds_load_b32 v6, v109 offset:4116
	;; [unrolled: 1-line block ×3, first 2 shown]
	s_wait_dscnt 0x2
	v_lshrrev_b32_e32 v4, 16, v3
	s_wait_loadcnt 0x0
	v_lshrrev_b32_e32 v5, 16, v2
	s_delay_alu instid0(VALU_DEP_1) | instskip(SKIP_1) | instid1(VALU_DEP_2)
	v_mul_f16_e32 v8, v4, v5
	v_mul_f16_e32 v5, v3, v5
	v_fmac_f16_e32 v8, v3, v2
	s_delay_alu instid0(VALU_DEP_2) | instskip(NEXT) | instid1(VALU_DEP_2)
	v_fma_f16 v2, v2, v4, -v5
	v_cvt_f32_f16_e32 v3, v8
	s_delay_alu instid0(VALU_DEP_2) | instskip(NEXT) | instid1(VALU_DEP_2)
	v_cvt_f32_f16_e32 v4, v2
	v_cvt_f64_f32_e32 v[2:3], v3
	s_delay_alu instid0(VALU_DEP_2) | instskip(NEXT) | instid1(VALU_DEP_2)
	v_cvt_f64_f32_e32 v[4:5], v4
	v_mul_f64_e32 v[2:3], s[10:11], v[2:3]
	s_delay_alu instid0(VALU_DEP_2) | instskip(NEXT) | instid1(VALU_DEP_2)
	v_mul_f64_e32 v[4:5], s[10:11], v[4:5]
	v_and_or_b32 v2, 0x1ff, v3, v2
	s_delay_alu instid0(VALU_DEP_2)
	v_and_or_b32 v4, 0x1ff, v5, v4
	v_lshrrev_b32_e32 v8, 8, v3
	v_bfe_u32 v9, v3, 20, 11
	v_lshrrev_b32_e32 v10, 8, v5
	v_cmp_ne_u32_e32 vcc_lo, 0, v2
	v_bfe_u32 v11, v5, 20, 11
	v_lshrrev_b32_e32 v3, 16, v3
	v_sub_nc_u32_e32 v12, 0x3f1, v9
	v_lshrrev_b32_e32 v5, 16, v5
	s_wait_alu 0xfffd
	v_cndmask_b32_e64 v2, 0, 1, vcc_lo
	v_cmp_ne_u32_e32 vcc_lo, 0, v4
	s_delay_alu instid0(VALU_DEP_2) | instskip(SKIP_3) | instid1(VALU_DEP_2)
	v_and_or_b32 v2, 0xffe, v8, v2
	s_wait_alu 0xfffd
	v_cndmask_b32_e64 v4, 0, 1, vcc_lo
	v_sub_nc_u32_e32 v8, 0x3f1, v11
	v_and_or_b32 v4, 0xffe, v10, v4
	v_med3_i32 v10, v12, 0, 13
	v_or_b32_e32 v12, 0x1000, v2
	s_delay_alu instid0(VALU_DEP_4) | instskip(NEXT) | instid1(VALU_DEP_4)
	v_med3_i32 v8, v8, 0, 13
	v_or_b32_e32 v13, 0x1000, v4
	s_delay_alu instid0(VALU_DEP_3) | instskip(NEXT) | instid1(VALU_DEP_2)
	v_lshrrev_b32_e32 v14, v10, v12
	v_lshrrev_b32_e32 v15, v8, v13
	s_delay_alu instid0(VALU_DEP_2) | instskip(NEXT) | instid1(VALU_DEP_2)
	v_lshlrev_b32_e32 v10, v10, v14
	v_lshlrev_b32_e32 v8, v8, v15
	s_delay_alu instid0(VALU_DEP_2) | instskip(SKIP_2) | instid1(VALU_DEP_3)
	v_cmp_ne_u32_e32 vcc_lo, v10, v12
	s_wait_alu 0xfffd
	v_cndmask_b32_e64 v10, 0, 1, vcc_lo
	v_cmp_ne_u32_e32 vcc_lo, v8, v13
	s_delay_alu instid0(VALU_DEP_2) | instskip(SKIP_3) | instid1(VALU_DEP_2)
	v_or_b32_e32 v10, v14, v10
	v_add_nc_u32_e32 v9, 0xfffffc10, v9
	s_wait_alu 0xfffd
	v_cndmask_b32_e64 v8, 0, 1, vcc_lo
	v_lshl_or_b32 v12, v9, 12, v2
	s_delay_alu instid0(VALU_DEP_2) | instskip(SKIP_2) | instid1(VALU_DEP_2)
	v_or_b32_e32 v8, v15, v8
	v_add_nc_u32_e32 v11, 0xfffffc10, v11
	v_cmp_gt_i32_e32 vcc_lo, 1, v9
	v_lshl_or_b32 v13, v11, 12, v4
	s_wait_alu 0xfffd
	v_cndmask_b32_e32 v10, v12, v10, vcc_lo
	v_cmp_gt_i32_e32 vcc_lo, 1, v11
	s_delay_alu instid0(VALU_DEP_2)
	v_and_b32_e32 v12, 7, v10
	s_wait_alu 0xfffd
	v_cndmask_b32_e32 v8, v13, v8, vcc_lo
	v_cmp_ne_u32_e32 vcc_lo, 0, v2
	v_lshrrev_b32_e32 v10, 2, v10
	v_cmp_eq_u32_e64 s0, 3, v12
	s_wait_alu 0xfffd
	v_cndmask_b32_e64 v2, 0, 1, vcc_lo
	v_cmp_ne_u32_e32 vcc_lo, 0, v4
	s_delay_alu instid0(VALU_DEP_2) | instskip(SKIP_3) | instid1(VALU_DEP_2)
	v_lshl_or_b32 v2, v2, 9, 0x7c00
	s_wait_alu 0xfffd
	v_cndmask_b32_e64 v4, 0, 1, vcc_lo
	v_cmp_lt_i32_e32 vcc_lo, 5, v12
	v_lshl_or_b32 v4, v4, 9, 0x7c00
	s_or_b32 vcc_lo, s0, vcc_lo
	s_wait_alu 0xfffe
	v_add_co_ci_u32_e32 v10, vcc_lo, 0, v10, vcc_lo
	v_and_b32_e32 v13, 7, v8
	v_lshrrev_b32_e32 v8, 2, v8
	s_delay_alu instid0(VALU_DEP_2) | instskip(SKIP_1) | instid1(VALU_DEP_1)
	v_cmp_lt_i32_e64 s1, 5, v13
	v_cmp_eq_u32_e64 s2, 3, v13
	s_or_b32 vcc_lo, s2, s1
	s_wait_alu 0xfffe
	v_add_co_ci_u32_e32 v8, vcc_lo, 0, v8, vcc_lo
	v_cmp_gt_i32_e32 vcc_lo, 31, v9
	s_wait_alu 0xfffd
	v_cndmask_b32_e32 v10, 0x7c00, v10, vcc_lo
	v_cmp_gt_i32_e32 vcc_lo, 31, v11
	s_wait_alu 0xfffd
	v_cndmask_b32_e32 v8, 0x7c00, v8, vcc_lo
	v_cmp_eq_u32_e32 vcc_lo, 0x40f, v9
	s_wait_alu 0xfffd
	v_cndmask_b32_e32 v2, v10, v2, vcc_lo
	v_cmp_eq_u32_e32 vcc_lo, 0x40f, v11
	s_delay_alu instid0(VALU_DEP_2)
	v_and_or_b32 v2, 0x8000, v3, v2
	s_wait_alu 0xfffd
	v_cndmask_b32_e32 v4, v8, v4, vcc_lo
	v_add_co_u32 v0, vcc_lo, v0, s4
	s_wait_alu 0xfffd
	v_add_co_ci_u32_e32 v1, vcc_lo, s5, v1, vcc_lo
	s_delay_alu instid0(VALU_DEP_3) | instskip(SKIP_1) | instid1(VALU_DEP_1)
	v_and_or_b32 v3, 0x8000, v5, v4
	v_and_b32_e32 v2, 0xffff, v2
	v_lshl_or_b32 v2, v3, 16, v2
	s_wait_dscnt 0x1
	v_lshrrev_b32_e32 v3, 16, v6
	global_store_b32 v[0:1], v2, off
	global_load_b32 v2, v[56:57], off offset:4116
	s_wait_loadcnt 0x0
	v_lshrrev_b32_e32 v4, 16, v2
	s_delay_alu instid0(VALU_DEP_1) | instskip(SKIP_1) | instid1(VALU_DEP_2)
	v_mul_f16_e32 v5, v3, v4
	v_mul_f16_e32 v4, v6, v4
	v_fmac_f16_e32 v5, v6, v2
	s_delay_alu instid0(VALU_DEP_2) | instskip(NEXT) | instid1(VALU_DEP_2)
	v_fma_f16 v2, v2, v3, -v4
	v_cvt_f32_f16_e32 v3, v5
	s_delay_alu instid0(VALU_DEP_2) | instskip(NEXT) | instid1(VALU_DEP_2)
	v_cvt_f32_f16_e32 v4, v2
	v_cvt_f64_f32_e32 v[2:3], v3
	s_delay_alu instid0(VALU_DEP_2) | instskip(NEXT) | instid1(VALU_DEP_2)
	v_cvt_f64_f32_e32 v[4:5], v4
	v_mul_f64_e32 v[2:3], s[10:11], v[2:3]
	s_delay_alu instid0(VALU_DEP_2) | instskip(NEXT) | instid1(VALU_DEP_2)
	v_mul_f64_e32 v[4:5], s[10:11], v[4:5]
	v_and_or_b32 v2, 0x1ff, v3, v2
	s_delay_alu instid0(VALU_DEP_2)
	v_and_or_b32 v4, 0x1ff, v5, v4
	v_lshrrev_b32_e32 v6, 8, v3
	v_bfe_u32 v8, v3, 20, 11
	v_lshrrev_b32_e32 v9, 8, v5
	v_cmp_ne_u32_e32 vcc_lo, 0, v2
	v_bfe_u32 v10, v5, 20, 11
	v_lshrrev_b32_e32 v3, 16, v3
	v_sub_nc_u32_e32 v11, 0x3f1, v8
	v_add_nc_u32_e32 v8, 0xfffffc10, v8
	s_wait_alu 0xfffd
	v_cndmask_b32_e64 v2, 0, 1, vcc_lo
	v_cmp_ne_u32_e32 vcc_lo, 0, v4
	v_lshrrev_b32_e32 v5, 16, v5
	s_delay_alu instid0(VALU_DEP_3) | instskip(SKIP_4) | instid1(VALU_DEP_3)
	v_and_or_b32 v2, 0xffe, v6, v2
	s_wait_alu 0xfffd
	v_cndmask_b32_e64 v4, 0, 1, vcc_lo
	v_sub_nc_u32_e32 v6, 0x3f1, v10
	v_add_nc_u32_e32 v10, 0xfffffc10, v10
	v_and_or_b32 v4, 0xffe, v9, v4
	v_med3_i32 v9, v11, 0, 13
	v_or_b32_e32 v11, 0x1000, v2
	v_med3_i32 v6, v6, 0, 13
	s_delay_alu instid0(VALU_DEP_4) | instskip(NEXT) | instid1(VALU_DEP_3)
	v_or_b32_e32 v12, 0x1000, v4
	v_lshrrev_b32_e32 v13, v9, v11
	s_delay_alu instid0(VALU_DEP_2) | instskip(NEXT) | instid1(VALU_DEP_2)
	v_lshrrev_b32_e32 v14, v6, v12
	v_lshlrev_b32_e32 v9, v9, v13
	s_delay_alu instid0(VALU_DEP_2) | instskip(NEXT) | instid1(VALU_DEP_2)
	v_lshlrev_b32_e32 v6, v6, v14
	v_cmp_ne_u32_e32 vcc_lo, v9, v11
	v_lshl_or_b32 v11, v8, 12, v2
	s_wait_alu 0xfffd
	v_cndmask_b32_e64 v9, 0, 1, vcc_lo
	v_cmp_ne_u32_e32 vcc_lo, v6, v12
	v_lshl_or_b32 v12, v10, 12, v4
	s_delay_alu instid0(VALU_DEP_3) | instskip(SKIP_3) | instid1(VALU_DEP_2)
	v_or_b32_e32 v9, v13, v9
	s_wait_alu 0xfffd
	v_cndmask_b32_e64 v6, 0, 1, vcc_lo
	v_cmp_gt_i32_e32 vcc_lo, 1, v8
	v_or_b32_e32 v6, v14, v6
	s_wait_alu 0xfffd
	v_cndmask_b32_e32 v9, v11, v9, vcc_lo
	v_cmp_gt_i32_e32 vcc_lo, 1, v10
	s_wait_alu 0xfffd
	s_delay_alu instid0(VALU_DEP_2) | instskip(SKIP_2) | instid1(VALU_DEP_3)
	v_dual_cndmask_b32 v6, v12, v6 :: v_dual_and_b32 v11, 7, v9
	v_cmp_ne_u32_e32 vcc_lo, 0, v2
	v_lshrrev_b32_e32 v9, 2, v9
	v_cmp_eq_u32_e64 s0, 3, v11
	s_delay_alu instid0(VALU_DEP_4)
	v_and_b32_e32 v12, 7, v6
	s_wait_alu 0xfffd
	v_cndmask_b32_e64 v2, 0, 1, vcc_lo
	v_cmp_ne_u32_e32 vcc_lo, 0, v4
	v_lshrrev_b32_e32 v6, 2, v6
	v_cmp_lt_i32_e64 s1, 5, v12
	v_cmp_eq_u32_e64 s2, 3, v12
	s_wait_alu 0xfffd
	v_cndmask_b32_e64 v4, 0, 1, vcc_lo
	v_cmp_lt_i32_e32 vcc_lo, 5, v11
	v_lshl_or_b32 v2, v2, 9, 0x7c00
	s_delay_alu instid0(VALU_DEP_3)
	v_lshl_or_b32 v4, v4, 9, 0x7c00
	s_or_b32 vcc_lo, s0, vcc_lo
	s_wait_alu 0xfffe
	v_add_co_ci_u32_e32 v9, vcc_lo, 0, v9, vcc_lo
	s_or_b32 vcc_lo, s2, s1
	s_wait_alu 0xfffe
	v_add_co_ci_u32_e32 v6, vcc_lo, 0, v6, vcc_lo
	v_cmp_gt_i32_e32 vcc_lo, 31, v8
	s_wait_alu 0xfffd
	v_cndmask_b32_e32 v9, 0x7c00, v9, vcc_lo
	v_cmp_gt_i32_e32 vcc_lo, 31, v10
	s_wait_alu 0xfffd
	v_cndmask_b32_e32 v6, 0x7c00, v6, vcc_lo
	v_cmp_eq_u32_e32 vcc_lo, 0x40f, v8
	s_wait_alu 0xfffd
	v_cndmask_b32_e32 v2, v9, v2, vcc_lo
	v_cmp_eq_u32_e32 vcc_lo, 0x40f, v10
	s_delay_alu instid0(VALU_DEP_2)
	v_and_or_b32 v2, 0x8000, v3, v2
	s_wait_alu 0xfffd
	v_cndmask_b32_e32 v4, v6, v4, vcc_lo
	v_add_co_u32 v0, vcc_lo, v0, s6
	s_wait_alu 0xfffd
	v_add_co_ci_u32_e32 v1, vcc_lo, s7, v1, vcc_lo
	s_delay_alu instid0(VALU_DEP_3) | instskip(SKIP_1) | instid1(VALU_DEP_1)
	v_and_or_b32 v3, 0x8000, v5, v4
	v_and_b32_e32 v2, 0xffff, v2
	v_lshl_or_b32 v2, v3, 16, v2
	s_wait_dscnt 0x0
	v_lshrrev_b32_e32 v3, 16, v7
	global_store_b32 v[0:1], v2, off
	global_load_b32 v2, v[56:57], off offset:6216
	s_wait_loadcnt 0x0
	v_lshrrev_b32_e32 v4, 16, v2
	s_delay_alu instid0(VALU_DEP_1) | instskip(SKIP_1) | instid1(VALU_DEP_2)
	v_mul_f16_e32 v5, v3, v4
	v_mul_f16_e32 v4, v7, v4
	v_fmac_f16_e32 v5, v7, v2
	s_delay_alu instid0(VALU_DEP_2) | instskip(NEXT) | instid1(VALU_DEP_2)
	v_fma_f16 v2, v2, v3, -v4
	v_cvt_f32_f16_e32 v3, v5
	s_delay_alu instid0(VALU_DEP_2) | instskip(NEXT) | instid1(VALU_DEP_2)
	v_cvt_f32_f16_e32 v4, v2
	v_cvt_f64_f32_e32 v[2:3], v3
	s_delay_alu instid0(VALU_DEP_2) | instskip(NEXT) | instid1(VALU_DEP_2)
	v_cvt_f64_f32_e32 v[4:5], v4
	v_mul_f64_e32 v[2:3], s[10:11], v[2:3]
	s_delay_alu instid0(VALU_DEP_2) | instskip(NEXT) | instid1(VALU_DEP_2)
	v_mul_f64_e32 v[4:5], s[10:11], v[4:5]
	v_and_or_b32 v2, 0x1ff, v3, v2
	s_delay_alu instid0(VALU_DEP_2)
	v_and_or_b32 v4, 0x1ff, v5, v4
	v_lshrrev_b32_e32 v6, 8, v3
	v_bfe_u32 v7, v3, 20, 11
	v_lshrrev_b32_e32 v8, 8, v5
	v_cmp_ne_u32_e32 vcc_lo, 0, v2
	v_bfe_u32 v9, v5, 20, 11
	v_lshrrev_b32_e32 v3, 16, v3
	v_sub_nc_u32_e32 v10, 0x3f1, v7
	v_add_nc_u32_e32 v7, 0xfffffc10, v7
	s_wait_alu 0xfffd
	v_cndmask_b32_e64 v2, 0, 1, vcc_lo
	v_cmp_ne_u32_e32 vcc_lo, 0, v4
	v_lshrrev_b32_e32 v5, 16, v5
	s_delay_alu instid0(VALU_DEP_3) | instskip(SKIP_4) | instid1(VALU_DEP_3)
	v_and_or_b32 v2, 0xffe, v6, v2
	s_wait_alu 0xfffd
	v_cndmask_b32_e64 v4, 0, 1, vcc_lo
	v_sub_nc_u32_e32 v6, 0x3f1, v9
	v_add_nc_u32_e32 v9, 0xfffffc10, v9
	v_and_or_b32 v4, 0xffe, v8, v4
	v_med3_i32 v8, v10, 0, 13
	v_or_b32_e32 v10, 0x1000, v2
	v_med3_i32 v6, v6, 0, 13
	s_delay_alu instid0(VALU_DEP_4) | instskip(NEXT) | instid1(VALU_DEP_3)
	v_or_b32_e32 v11, 0x1000, v4
	v_lshrrev_b32_e32 v12, v8, v10
	s_delay_alu instid0(VALU_DEP_2) | instskip(NEXT) | instid1(VALU_DEP_2)
	v_lshrrev_b32_e32 v13, v6, v11
	v_lshlrev_b32_e32 v8, v8, v12
	s_delay_alu instid0(VALU_DEP_2) | instskip(NEXT) | instid1(VALU_DEP_2)
	v_lshlrev_b32_e32 v6, v6, v13
	v_cmp_ne_u32_e32 vcc_lo, v8, v10
	v_lshl_or_b32 v10, v7, 12, v2
	s_wait_alu 0xfffd
	v_cndmask_b32_e64 v8, 0, 1, vcc_lo
	v_cmp_ne_u32_e32 vcc_lo, v6, v11
	v_lshl_or_b32 v11, v9, 12, v4
	s_delay_alu instid0(VALU_DEP_3) | instskip(SKIP_3) | instid1(VALU_DEP_2)
	v_or_b32_e32 v8, v12, v8
	s_wait_alu 0xfffd
	v_cndmask_b32_e64 v6, 0, 1, vcc_lo
	v_cmp_gt_i32_e32 vcc_lo, 1, v7
	v_or_b32_e32 v6, v13, v6
	s_wait_alu 0xfffd
	v_cndmask_b32_e32 v8, v10, v8, vcc_lo
	v_cmp_gt_i32_e32 vcc_lo, 1, v9
	s_delay_alu instid0(VALU_DEP_2)
	v_and_b32_e32 v10, 7, v8
	s_wait_alu 0xfffd
	v_cndmask_b32_e32 v6, v11, v6, vcc_lo
	v_cmp_ne_u32_e32 vcc_lo, 0, v2
	v_lshrrev_b32_e32 v8, 2, v8
	v_cmp_eq_u32_e64 s0, 3, v10
	s_delay_alu instid0(VALU_DEP_4)
	v_and_b32_e32 v11, 7, v6
	s_wait_alu 0xfffd
	v_cndmask_b32_e64 v2, 0, 1, vcc_lo
	v_cmp_ne_u32_e32 vcc_lo, 0, v4
	v_lshrrev_b32_e32 v6, 2, v6
	v_cmp_lt_i32_e64 s1, 5, v11
	v_cmp_eq_u32_e64 s2, 3, v11
	s_wait_alu 0xfffd
	v_cndmask_b32_e64 v4, 0, 1, vcc_lo
	v_cmp_lt_i32_e32 vcc_lo, 5, v10
	v_lshl_or_b32 v2, v2, 9, 0x7c00
	s_delay_alu instid0(VALU_DEP_3)
	v_lshl_or_b32 v4, v4, 9, 0x7c00
	s_or_b32 vcc_lo, s0, vcc_lo
	s_wait_alu 0xfffe
	v_add_co_ci_u32_e32 v8, vcc_lo, 0, v8, vcc_lo
	s_or_b32 vcc_lo, s2, s1
	s_wait_alu 0xfffe
	v_add_co_ci_u32_e32 v6, vcc_lo, 0, v6, vcc_lo
	v_cmp_gt_i32_e32 vcc_lo, 31, v7
	s_wait_alu 0xfffd
	v_cndmask_b32_e32 v8, 0x7c00, v8, vcc_lo
	v_cmp_gt_i32_e32 vcc_lo, 31, v9
	s_wait_alu 0xfffd
	v_cndmask_b32_e32 v6, 0x7c00, v6, vcc_lo
	v_cmp_eq_u32_e32 vcc_lo, 0x40f, v7
	s_wait_alu 0xfffd
	v_cndmask_b32_e32 v2, v8, v2, vcc_lo
	v_cmp_eq_u32_e32 vcc_lo, 0x40f, v9
	s_delay_alu instid0(VALU_DEP_2)
	v_and_or_b32 v2, 0x8000, v3, v2
	s_wait_alu 0xfffd
	v_cndmask_b32_e32 v4, v6, v4, vcc_lo
	v_add_co_u32 v0, vcc_lo, v0, s6
	s_wait_alu 0xfffd
	v_add_co_ci_u32_e32 v1, vcc_lo, s7, v1, vcc_lo
	s_delay_alu instid0(VALU_DEP_3) | instskip(SKIP_1) | instid1(VALU_DEP_1)
	v_and_or_b32 v3, 0x8000, v5, v4
	v_and_b32_e32 v2, 0xffff, v2
	v_lshl_or_b32 v2, v3, 16, v2
	global_store_b32 v[0:1], v2, off
.LBB0_31:
	s_nop 0
	s_sendmsg sendmsg(MSG_DEALLOC_VGPRS)
	s_endpgm
	.section	.rodata,"a",@progbits
	.p2align	6, 0x0
	.amdhsa_kernel bluestein_single_back_len1575_dim1_half_op_CI_CI
		.amdhsa_group_segment_fixed_size 6300
		.amdhsa_private_segment_fixed_size 80
		.amdhsa_kernarg_size 104
		.amdhsa_user_sgpr_count 2
		.amdhsa_user_sgpr_dispatch_ptr 0
		.amdhsa_user_sgpr_queue_ptr 0
		.amdhsa_user_sgpr_kernarg_segment_ptr 1
		.amdhsa_user_sgpr_dispatch_id 0
		.amdhsa_user_sgpr_private_segment_size 0
		.amdhsa_wavefront_size32 1
		.amdhsa_uses_dynamic_stack 0
		.amdhsa_enable_private_segment 1
		.amdhsa_system_sgpr_workgroup_id_x 1
		.amdhsa_system_sgpr_workgroup_id_y 0
		.amdhsa_system_sgpr_workgroup_id_z 0
		.amdhsa_system_sgpr_workgroup_info 0
		.amdhsa_system_vgpr_workitem_id 0
		.amdhsa_next_free_vgpr 256
		.amdhsa_next_free_sgpr 16
		.amdhsa_reserve_vcc 1
		.amdhsa_float_round_mode_32 0
		.amdhsa_float_round_mode_16_64 0
		.amdhsa_float_denorm_mode_32 3
		.amdhsa_float_denorm_mode_16_64 3
		.amdhsa_fp16_overflow 0
		.amdhsa_workgroup_processor_mode 1
		.amdhsa_memory_ordered 1
		.amdhsa_forward_progress 0
		.amdhsa_round_robin_scheduling 0
		.amdhsa_exception_fp_ieee_invalid_op 0
		.amdhsa_exception_fp_denorm_src 0
		.amdhsa_exception_fp_ieee_div_zero 0
		.amdhsa_exception_fp_ieee_overflow 0
		.amdhsa_exception_fp_ieee_underflow 0
		.amdhsa_exception_fp_ieee_inexact 0
		.amdhsa_exception_int_div_zero 0
	.end_amdhsa_kernel
	.text
.Lfunc_end0:
	.size	bluestein_single_back_len1575_dim1_half_op_CI_CI, .Lfunc_end0-bluestein_single_back_len1575_dim1_half_op_CI_CI
                                        ; -- End function
	.section	.AMDGPU.csdata,"",@progbits
; Kernel info:
; codeLenInByte = 53380
; NumSgprs: 18
; NumVgprs: 256
; ScratchSize: 80
; MemoryBound: 0
; FloatMode: 240
; IeeeMode: 1
; LDSByteSize: 6300 bytes/workgroup (compile time only)
; SGPRBlocks: 2
; VGPRBlocks: 31
; NumSGPRsForWavesPerEU: 18
; NumVGPRsForWavesPerEU: 256
; Occupancy: 5
; WaveLimiterHint : 1
; COMPUTE_PGM_RSRC2:SCRATCH_EN: 1
; COMPUTE_PGM_RSRC2:USER_SGPR: 2
; COMPUTE_PGM_RSRC2:TRAP_HANDLER: 0
; COMPUTE_PGM_RSRC2:TGID_X_EN: 1
; COMPUTE_PGM_RSRC2:TGID_Y_EN: 0
; COMPUTE_PGM_RSRC2:TGID_Z_EN: 0
; COMPUTE_PGM_RSRC2:TIDIG_COMP_CNT: 0
	.text
	.p2alignl 7, 3214868480
	.fill 96, 4, 3214868480
	.type	__hip_cuid_a4ab0b8b180ef587,@object ; @__hip_cuid_a4ab0b8b180ef587
	.section	.bss,"aw",@nobits
	.globl	__hip_cuid_a4ab0b8b180ef587
__hip_cuid_a4ab0b8b180ef587:
	.byte	0                               ; 0x0
	.size	__hip_cuid_a4ab0b8b180ef587, 1

	.ident	"AMD clang version 19.0.0git (https://github.com/RadeonOpenCompute/llvm-project roc-6.4.0 25133 c7fe45cf4b819c5991fe208aaa96edf142730f1d)"
	.section	".note.GNU-stack","",@progbits
	.addrsig
	.addrsig_sym __hip_cuid_a4ab0b8b180ef587
	.amdgpu_metadata
---
amdhsa.kernels:
  - .args:
      - .actual_access:  read_only
        .address_space:  global
        .offset:         0
        .size:           8
        .value_kind:     global_buffer
      - .actual_access:  read_only
        .address_space:  global
        .offset:         8
        .size:           8
        .value_kind:     global_buffer
      - .actual_access:  read_only
        .address_space:  global
        .offset:         16
        .size:           8
        .value_kind:     global_buffer
      - .actual_access:  read_only
        .address_space:  global
        .offset:         24
        .size:           8
        .value_kind:     global_buffer
      - .actual_access:  read_only
        .address_space:  global
        .offset:         32
        .size:           8
        .value_kind:     global_buffer
      - .offset:         40
        .size:           8
        .value_kind:     by_value
      - .address_space:  global
        .offset:         48
        .size:           8
        .value_kind:     global_buffer
      - .address_space:  global
        .offset:         56
        .size:           8
        .value_kind:     global_buffer
      - .address_space:  global
        .offset:         64
        .size:           8
        .value_kind:     global_buffer
      - .address_space:  global
        .offset:         72
        .size:           8
        .value_kind:     global_buffer
      - .offset:         80
        .size:           4
        .value_kind:     by_value
      - .address_space:  global
        .offset:         88
        .size:           8
        .value_kind:     global_buffer
      - .address_space:  global
        .offset:         96
        .size:           8
        .value_kind:     global_buffer
    .group_segment_fixed_size: 6300
    .kernarg_segment_align: 8
    .kernarg_segment_size: 104
    .language:       OpenCL C
    .language_version:
      - 2
      - 0
    .max_flat_workgroup_size: 63
    .name:           bluestein_single_back_len1575_dim1_half_op_CI_CI
    .private_segment_fixed_size: 80
    .sgpr_count:     18
    .sgpr_spill_count: 0
    .symbol:         bluestein_single_back_len1575_dim1_half_op_CI_CI.kd
    .uniform_work_group_size: 1
    .uses_dynamic_stack: false
    .vgpr_count:     256
    .vgpr_spill_count: 19
    .wavefront_size: 32
    .workgroup_processor_mode: 1
amdhsa.target:   amdgcn-amd-amdhsa--gfx1201
amdhsa.version:
  - 1
  - 2
...

	.end_amdgpu_metadata
